;; amdgpu-corpus repo=ROCm/rocFFT kind=compiled arch=gfx1030 opt=O3
	.text
	.amdgcn_target "amdgcn-amd-amdhsa--gfx1030"
	.amdhsa_code_object_version 6
	.protected	bluestein_single_back_len1716_dim1_dp_op_CI_CI ; -- Begin function bluestein_single_back_len1716_dim1_dp_op_CI_CI
	.globl	bluestein_single_back_len1716_dim1_dp_op_CI_CI
	.p2align	8
	.type	bluestein_single_back_len1716_dim1_dp_op_CI_CI,@function
bluestein_single_back_len1716_dim1_dp_op_CI_CI: ; @bluestein_single_back_len1716_dim1_dp_op_CI_CI
; %bb.0:
	v_mul_u32_u24_e32 v1, 0x1a5, v0
	s_mov_b64 s[50:51], s[2:3]
	s_mov_b64 s[48:49], s[0:1]
	s_load_dwordx4 s[0:3], s[4:5], 0x28
	s_add_u32 s48, s48, s7
	v_lshrrev_b32_e32 v1, 16, v1
	s_addc_u32 s49, s49, 0
	v_mov_b32_e32 v4, 0
	v_add_nc_u32_e32 v3, s6, v1
	v_mov_b32_e32 v2, v3
	buffer_store_dword v2, off, s[48:51], 0 ; 4-byte Folded Spill
	buffer_store_dword v3, off, s[48:51], 0 offset:4 ; 4-byte Folded Spill
	s_waitcnt lgkmcnt(0)
	v_cmp_gt_u64_e32 vcc_lo, s[0:1], v[3:4]
	s_and_saveexec_b32 s0, vcc_lo
	s_cbranch_execz .LBB0_31
; %bb.1:
	s_clause 0x1
	s_load_dwordx2 s[14:15], s[4:5], 0x0
	s_load_dwordx2 s[12:13], s[4:5], 0x38
	v_mul_lo_u16 v1, 0x9c, v1
	v_sub_nc_u16 v0, v0, v1
	v_and_b32_e32 v217, 0xffff, v0
	v_cmp_gt_u16_e32 vcc_lo, 0x84, v0
	v_lshlrev_b32_e32 v255, 4, v217
	s_and_saveexec_b32 s1, vcc_lo
	s_cbranch_execz .LBB0_3
; %bb.2:
	s_load_dwordx2 s[6:7], s[4:5], 0x18
	s_waitcnt lgkmcnt(0)
	global_load_dwordx4 v[0:3], v255, s[14:15]
	v_add_co_u32 v90, s0, s14, v255
	v_add_co_ci_u32_e64 v91, null, s15, 0, s0
	v_add_co_u32 v4, s0, 0x800, v90
	v_add_co_ci_u32_e64 v5, s0, 0, v91, s0
	v_add_co_u32 v8, s0, 0x1000, v90
	v_add_co_ci_u32_e64 v9, s0, 0, v91, s0
	;; [unrolled: 2-line block ×3, first 2 shown]
	v_add_co_u32 v16, s0, 0x2000, v90
	s_load_dwordx4 s[8:11], s[6:7], 0x0
	s_clause 0x1
	buffer_load_dword v6, off, s[48:51], 0
	buffer_load_dword v7, off, s[48:51], 0 offset:4
	v_add_co_ci_u32_e64 v17, s0, 0, v91, s0
	v_add_co_u32 v20, s0, 0x2800, v90
	v_add_co_ci_u32_e64 v21, s0, 0, v91, s0
	v_add_co_u32 v24, s0, 0x3000, v90
	;; [unrolled: 2-line block ×4, first 2 shown]
	v_add_co_ci_u32_e64 v33, s0, 0, v91, s0
	s_waitcnt lgkmcnt(0)
	v_mad_u64_u32 v[26:27], null, s8, v217, 0
	v_add_co_u32 v36, s0, 0x4800, v90
	v_add_co_ci_u32_e64 v37, s0, 0, v91, s0
	v_add_co_u32 v84, s0, 0x5000, v90
	s_waitcnt vmcnt(0)
	v_mov_b32_e32 v7, v27
	v_add_co_ci_u32_e64 v85, s0, 0, v91, s0
	s_mul_i32 s6, s9, 0x840
	s_mul_hi_u32 s7, s8, 0x840
	v_mad_u64_u32 v[30:31], null, s9, v217, v[7:8]
	s_add_i32 s7, s7, s6
	v_mov_b32_e32 v27, v30
	v_lshlrev_b64 v[26:27], 4, v[26:27]
	v_mov_b32_e32 v10, v6
	v_mad_u64_u32 v[22:23], null, s10, v10, 0
	v_mov_b32_e32 v6, v23
	v_mad_u64_u32 v[10:11], null, s11, v10, v[6:7]
	global_load_dwordx4 v[4:7], v[4:5], off offset:64
	v_mov_b32_e32 v23, v10
	s_clause 0x4
	global_load_dwordx4 v[8:11], v[8:9], off offset:128
	global_load_dwordx4 v[12:15], v[12:13], off offset:192
	global_load_dwordx4 v[16:19], v[16:17], off offset:256
	global_load_dwordx4 v[36:39], v[36:37], off offset:576
	global_load_dwordx4 v[32:35], v[32:33], off offset:512
	v_lshlrev_b64 v[30:31], 4, v[22:23]
	global_load_dwordx4 v[20:23], v[20:21], off offset:320
	v_add_co_u32 v30, s0, s2, v30
	v_add_co_ci_u32_e64 v31, s0, s3, v31, s0
	s_mul_i32 s2, s8, 0x840
	v_add_co_u32 v40, s0, v30, v26
	v_add_co_ci_u32_e64 v41, s0, v31, v27, s0
	global_load_dwordx4 v[24:27], v[24:25], off offset:384
	v_add_co_u32 v44, s0, v40, s2
	v_add_co_ci_u32_e64 v45, s0, s7, v41, s0
	global_load_dwordx4 v[28:31], v[28:29], off offset:448
	v_add_co_u32 v48, s0, v44, s2
	v_add_co_ci_u32_e64 v49, s0, s7, v45, s0
	s_clause 0x1
	global_load_dwordx4 v[40:43], v[40:41], off
	global_load_dwordx4 v[44:47], v[44:45], off
	v_add_co_u32 v52, s0, v48, s2
	v_add_co_ci_u32_e64 v53, s0, s7, v49, s0
	global_load_dwordx4 v[48:51], v[48:49], off
	v_add_co_u32 v56, s0, v52, s2
	v_add_co_ci_u32_e64 v57, s0, s7, v53, s0
	;; [unrolled: 3-line block ×5, first 2 shown]
	v_add_co_u32 v72, s0, v68, s2
	v_add_co_ci_u32_e64 v73, s0, s7, v69, s0
	v_add_co_u32 v76, s0, v72, s2
	v_add_co_ci_u32_e64 v77, s0, s7, v73, s0
	;; [unrolled: 2-line block ×3, first 2 shown]
	global_load_dwordx4 v[64:67], v[64:65], off
	global_load_dwordx4 v[68:71], v[68:69], off
	;; [unrolled: 1-line block ×5, first 2 shown]
	v_add_co_u32 v88, s0, v86, s2
	v_add_co_ci_u32_e64 v89, s0, s7, v87, s0
	v_add_co_u32 v92, s0, 0x5800, v90
	v_add_co_ci_u32_e64 v93, s0, 0, v91, s0
	;; [unrolled: 2-line block ×4, first 2 shown]
	global_load_dwordx4 v[84:87], v[84:85], off offset:640
	global_load_dwordx4 v[88:91], v[88:89], off
	s_clause 0x1
	global_load_dwordx4 v[92:95], v[92:93], off offset:704
	global_load_dwordx4 v[96:99], v[96:97], off offset:768
	global_load_dwordx4 v[100:103], v[100:101], off
	s_waitcnt vmcnt(15)
	v_mul_f64 v[104:105], v[42:43], v[2:3]
	v_mul_f64 v[2:3], v[40:41], v[2:3]
	s_waitcnt vmcnt(14)
	v_mul_f64 v[106:107], v[46:47], v[6:7]
	v_mul_f64 v[6:7], v[44:45], v[6:7]
	s_waitcnt vmcnt(13)
	v_mul_f64 v[108:109], v[50:51], v[10:11]
	v_mul_f64 v[10:11], v[48:49], v[10:11]
	s_waitcnt vmcnt(12)
	v_mul_f64 v[110:111], v[54:55], v[14:15]
	v_mul_f64 v[14:15], v[52:53], v[14:15]
	s_waitcnt vmcnt(11)
	v_mul_f64 v[112:113], v[58:59], v[18:19]
	v_mul_f64 v[18:19], v[56:57], v[18:19]
	v_fma_f64 v[40:41], v[40:41], v[0:1], v[104:105]
	s_waitcnt vmcnt(10)
	v_mul_f64 v[104:105], v[62:63], v[22:23]
	v_mul_f64 v[22:23], v[60:61], v[22:23]
	v_fma_f64 v[42:43], v[42:43], v[0:1], -v[2:3]
	v_fma_f64 v[0:1], v[44:45], v[4:5], v[106:107]
	v_fma_f64 v[2:3], v[46:47], v[4:5], -v[6:7]
	v_fma_f64 v[4:5], v[48:49], v[8:9], v[108:109]
	;; [unrolled: 2-line block ×3, first 2 shown]
	v_fma_f64 v[10:11], v[54:55], v[12:13], -v[14:15]
	s_waitcnt vmcnt(9)
	v_mul_f64 v[44:45], v[66:67], v[26:27]
	v_mul_f64 v[26:27], v[64:65], v[26:27]
	s_waitcnt vmcnt(8)
	v_mul_f64 v[46:47], v[70:71], v[30:31]
	v_mul_f64 v[30:31], v[68:69], v[30:31]
	s_waitcnt vmcnt(7)
	v_mul_f64 v[106:107], v[74:75], v[34:35]
	v_mul_f64 v[34:35], v[72:73], v[34:35]
	s_waitcnt vmcnt(6)
	v_mul_f64 v[114:115], v[78:79], v[38:39]
	v_mul_f64 v[38:39], v[76:77], v[38:39]
	v_fma_f64 v[12:13], v[56:57], v[16:17], v[112:113]
	v_fma_f64 v[14:15], v[58:59], v[16:17], -v[18:19]
	v_fma_f64 v[16:17], v[60:61], v[20:21], v[104:105]
	v_fma_f64 v[18:19], v[62:63], v[20:21], -v[22:23]
	s_waitcnt vmcnt(4)
	v_mul_f64 v[116:117], v[82:83], v[86:87]
	v_mul_f64 v[86:87], v[80:81], v[86:87]
	s_waitcnt vmcnt(2)
	v_mul_f64 v[118:119], v[90:91], v[94:95]
	v_mul_f64 v[94:95], v[88:89], v[94:95]
	s_waitcnt vmcnt(0)
	v_mul_f64 v[120:121], v[102:103], v[98:99]
	v_mul_f64 v[98:99], v[100:101], v[98:99]
	v_fma_f64 v[20:21], v[64:65], v[24:25], v[44:45]
	v_fma_f64 v[22:23], v[66:67], v[24:25], -v[26:27]
	v_fma_f64 v[24:25], v[68:69], v[28:29], v[46:47]
	v_fma_f64 v[26:27], v[70:71], v[28:29], -v[30:31]
	;; [unrolled: 2-line block ×7, first 2 shown]
	ds_write_b128 v255, v[40:43]
	ds_write_b128 v255, v[0:3] offset:2112
	ds_write_b128 v255, v[4:7] offset:4224
	;; [unrolled: 1-line block ×12, first 2 shown]
.LBB0_3:
	s_or_b32 exec_lo, exec_lo, s1
	s_waitcnt lgkmcnt(0)
	s_waitcnt_vscnt null, 0x0
	s_barrier
	buffer_gl0_inv
                                        ; implicit-def: $vgpr12_vgpr13
                                        ; implicit-def: $vgpr60_vgpr61
                                        ; implicit-def: $vgpr56_vgpr57
                                        ; implicit-def: $vgpr52_vgpr53
                                        ; implicit-def: $vgpr44_vgpr45
                                        ; implicit-def: $vgpr40_vgpr41
                                        ; implicit-def: $vgpr36_vgpr37
                                        ; implicit-def: $vgpr32_vgpr33
                                        ; implicit-def: $vgpr28_vgpr29
                                        ; implicit-def: $vgpr24_vgpr25
                                        ; implicit-def: $vgpr20_vgpr21
                                        ; implicit-def: $vgpr16_vgpr17
                                        ; implicit-def: $vgpr4_vgpr5
	s_and_saveexec_b32 s0, vcc_lo
	s_cbranch_execz .LBB0_5
; %bb.4:
	ds_read_b128 v[12:15], v255
	ds_read_b128 v[60:63], v255 offset:2112
	ds_read_b128 v[56:59], v255 offset:4224
	;; [unrolled: 1-line block ×12, first 2 shown]
.LBB0_5:
	s_or_b32 exec_lo, exec_lo, s0
	s_waitcnt lgkmcnt(0)
	v_add_f64 v[134:135], v[62:63], -v[6:7]
	v_add_f64 v[74:75], v[60:61], -v[4:5]
	s_mov_b32 s16, 0x4267c47c
	s_mov_b32 s0, 0x42a4c3d2
	;; [unrolled: 1-line block ×6, first 2 shown]
	v_add_f64 v[68:69], v[60:61], v[4:5]
	v_add_f64 v[132:133], v[62:63], v[6:7]
	v_add_f64 v[98:99], v[58:59], -v[18:19]
	v_add_f64 v[76:77], v[56:57], -v[16:17]
	s_mov_b32 s10, 0xe00740e9
	s_mov_b32 s8, 0x1ea71119
	s_mov_b32 s22, 0x2ef20147
	s_mov_b32 s20, 0xebaa3ed8
	s_mov_b32 s24, 0x4bc48dbf
	s_mov_b32 s11, 0x3fec55a7
	s_mov_b32 s9, 0x3fe22d96
	s_mov_b32 s23, 0xbfedeba7
	s_mov_b32 s21, 0x3fbedb7d
	s_mov_b32 s25, 0xbfcea1e5
	v_mul_f64 v[92:93], v[134:135], s[16:17]
	v_mul_f64 v[94:95], v[74:75], s[16:17]
	;; [unrolled: 1-line block ×6, first 2 shown]
	v_add_f64 v[64:65], v[56:57], v[16:17]
	v_add_f64 v[66:67], v[58:59], v[18:19]
	v_add_f64 v[82:83], v[54:55], -v[22:23]
	v_add_f64 v[78:79], v[52:53], -v[20:21]
	v_mul_f64 v[104:105], v[98:99], s[0:1]
	v_mul_f64 v[108:109], v[76:77], s[0:1]
	;; [unrolled: 1-line block ×6, first 2 shown]
	s_mov_b32 s26, 0xb2365da1
	s_mov_b32 s28, 0x93053d00
	;; [unrolled: 1-line block ×6, first 2 shown]
	v_fma_f64 v[0:1], v[68:69], s[10:11], v[92:93]
	v_fma_f64 v[2:3], v[132:133], s[10:11], -v[94:95]
	v_fma_f64 v[8:9], v[68:69], s[8:9], v[106:107]
	v_fma_f64 v[10:11], v[132:133], s[8:9], -v[116:117]
	;; [unrolled: 2-line block ×3, first 2 shown]
	v_add_f64 v[72:73], v[52:53], v[20:21]
	v_add_f64 v[80:81], v[54:55], v[22:23]
	v_add_f64 v[84:85], v[44:45], -v[24:25]
	v_add_f64 v[70:71], v[46:47], -v[26:27]
	v_mul_f64 v[114:115], v[82:83], s[18:19]
	v_mul_f64 v[118:119], v[78:79], s[18:19]
	v_fma_f64 v[130:131], v[64:65], s[8:9], v[104:105]
	v_fma_f64 v[136:137], v[66:67], s[8:9], -v[108:109]
	v_mul_f64 v[128:129], v[82:83], s[24:25]
	v_mul_f64 v[150:151], v[78:79], s[24:25]
	;; [unrolled: 1-line block ×3, first 2 shown]
	v_fma_f64 v[140:141], v[64:65], s[26:27], v[110:111]
	v_fma_f64 v[144:145], v[66:67], s[26:27], -v[122:123]
	v_fma_f64 v[146:147], v[64:65], s[28:29], v[126:127]
	v_mul_f64 v[175:176], v[78:79], s[30:31]
	v_fma_f64 v[148:149], v[66:67], s[28:29], -v[179:180]
	v_add_f64 v[0:1], v[12:13], v[0:1]
	v_add_f64 v[2:3], v[14:15], v[2:3]
	;; [unrolled: 1-line block ×6, first 2 shown]
	s_mov_b32 s36, 0x24c2f84
	s_mov_b32 s37, 0x3fe5384d
	;; [unrolled: 1-line block ×4, first 2 shown]
	v_add_f64 v[90:91], v[44:45], v[24:25]
	v_add_f64 v[112:113], v[46:47], v[26:27]
	v_add_f64 v[86:87], v[40:41], -v[28:29]
	v_add_f64 v[96:97], v[42:43], -v[30:31]
	v_mul_f64 v[124:125], v[70:71], s[22:23]
	v_mul_f64 v[138:139], v[84:85], s[22:23]
	v_fma_f64 v[154:155], v[72:73], s[20:21], v[114:115]
	v_fma_f64 v[156:157], v[80:81], s[20:21], -v[118:119]
	v_mul_f64 v[152:153], v[70:71], s[36:37]
	v_mul_f64 v[165:166], v[84:85], s[36:37]
	v_fma_f64 v[158:159], v[80:81], s[28:29], -v[150:151]
	v_mul_f64 v[171:172], v[70:71], s[42:43]
	v_add_f64 v[0:1], v[130:131], v[0:1]
	v_add_f64 v[2:3], v[136:137], v[2:3]
	v_fma_f64 v[130:131], v[72:73], s[28:29], v[128:129]
	v_add_f64 v[8:9], v[140:141], v[8:9]
	v_add_f64 v[10:11], v[144:145], v[10:11]
	v_fma_f64 v[144:145], v[72:73], s[26:27], v[142:143]
	v_add_f64 v[48:49], v[146:147], v[48:49]
	v_mul_f64 v[177:178], v[84:85], s[42:43]
	v_fma_f64 v[160:161], v[80:81], s[26:27], -v[175:176]
	v_add_f64 v[50:51], v[148:149], v[50:51]
	s_mov_b32 s38, 0xd0032e0c
	s_mov_b32 s41, 0xbfe5384d
	;; [unrolled: 1-line block ×6, first 2 shown]
	v_add_f64 v[88:89], v[40:41], v[28:29]
	v_add_f64 v[100:101], v[42:43], v[30:31]
	v_add_f64 v[102:103], v[36:37], -v[32:33]
	v_add_f64 v[120:121], v[38:39], -v[34:35]
	v_mul_f64 v[136:137], v[96:97], s[40:41]
	v_mul_f64 v[140:141], v[86:87], s[40:41]
	v_fma_f64 v[169:170], v[90:91], s[26:27], v[124:125]
	v_fma_f64 v[185:186], v[112:113], s[26:27], -v[138:139]
	v_add_f64 v[0:1], v[154:155], v[0:1]
	v_add_f64 v[2:3], v[156:157], v[2:3]
	v_mul_f64 v[146:147], v[96:97], s[34:35]
	v_mul_f64 v[154:155], v[86:87], s[34:35]
	v_fma_f64 v[187:188], v[90:91], s[38:39], v[152:153]
	v_add_f64 v[8:9], v[130:131], v[8:9]
	v_fma_f64 v[189:190], v[112:113], s[38:39], -v[165:166]
	v_add_f64 v[10:11], v[158:159], v[10:11]
	v_mul_f64 v[162:163], v[96:97], s[0:1]
	v_add_f64 v[48:49], v[144:145], v[48:49]
	v_fma_f64 v[191:192], v[90:91], s[10:11], v[171:172]
	v_fma_f64 v[193:194], v[112:113], s[10:11], -v[177:178]
	v_mul_f64 v[167:168], v[86:87], s[0:1]
	v_add_f64 v[50:51], v[160:161], v[50:51]
	v_add_f64 v[130:131], v[36:37], v[32:33]
	;; [unrolled: 1-line block ×3, first 2 shown]
	v_mul_f64 v[148:149], v[102:103], s[24:25]
	v_mul_f64 v[144:145], v[120:121], s[24:25]
	v_fma_f64 v[195:196], v[88:89], s[38:39], v[136:137]
	v_fma_f64 v[197:198], v[100:101], s[38:39], -v[140:141]
	v_mul_f64 v[156:157], v[120:121], s[42:43]
	v_mul_f64 v[158:159], v[102:103], s[42:43]
	v_add_f64 v[0:1], v[169:170], v[0:1]
	v_add_f64 v[2:3], v[185:186], v[2:3]
	v_fma_f64 v[185:186], v[88:89], s[20:21], v[146:147]
	v_mul_f64 v[160:161], v[120:121], s[40:41]
	v_mul_f64 v[169:170], v[102:103], s[40:41]
	v_add_f64 v[8:9], v[187:188], v[8:9]
	v_fma_f64 v[187:188], v[100:101], s[20:21], -v[154:155]
	v_add_f64 v[10:11], v[189:190], v[10:11]
	v_fma_f64 v[189:190], v[88:89], s[8:9], v[162:163]
	s_clause 0x1
	s_load_dwordx2 s[6:7], s[4:5], 0x20
	s_load_dwordx2 s[2:3], s[4:5], 0x8
	v_add_f64 v[48:49], v[191:192], v[48:49]
	v_mul_lo_u16 v164, v217, 13
	v_fma_f64 v[191:192], v[100:101], s[8:9], -v[167:168]
	v_add_f64 v[50:51], v[193:194], v[50:51]
	v_fma_f64 v[199:200], v[173:174], s[28:29], -v[148:149]
	v_fma_f64 v[193:194], v[130:131], s[28:29], v[144:145]
	buffer_store_dword v164, off, s[48:51], 0 offset:12 ; 4-byte Folded Spill
	s_waitcnt lgkmcnt(0)
	s_waitcnt_vscnt null, 0x0
	v_fma_f64 v[201:202], v[130:131], s[10:11], v[156:157]
	v_fma_f64 v[203:204], v[173:174], s[10:11], -v[158:159]
	v_add_f64 v[0:1], v[195:196], v[0:1]
	v_add_f64 v[2:3], v[197:198], v[2:3]
	s_barrier
	v_fma_f64 v[205:206], v[130:131], s[38:39], v[160:161]
	v_fma_f64 v[207:208], v[173:174], s[38:39], -v[169:170]
	v_add_f64 v[8:9], v[185:186], v[8:9]
	buffer_gl0_inv
	v_add_f64 v[10:11], v[187:188], v[10:11]
	v_add_f64 v[185:186], v[189:190], v[48:49]
	;; [unrolled: 1-line block ×9, first 2 shown]
	s_and_saveexec_b32 s33, vcc_lo
	s_cbranch_execz .LBB0_7
; %bb.6:
	v_add_f64 v[62:63], v[14:15], v[62:63]
	v_add_f64 v[60:61], v[12:13], v[60:61]
	v_mul_f64 v[185:186], v[132:133], s[28:29]
	v_mul_f64 v[187:188], v[132:133], s[38:39]
	s_mov_b32 s5, 0x3fcea1e5
	s_mov_b32 s4, s24
	v_mul_f64 v[189:190], v[132:133], s[26:27]
	v_mul_f64 v[193:194], v[134:135], s[24:25]
	;; [unrolled: 1-line block ×8, first 2 shown]
	v_mov_b32_e32 v164, v217
	v_mul_f64 v[217:218], v[80:81], s[8:9]
	s_mov_b32 s45, 0x3fea55e2
	s_mov_b32 s44, s0
	v_mul_f64 v[199:200], v[132:133], s[8:9]
	v_mul_f64 v[134:135], v[134:135], s[22:23]
	;; [unrolled: 1-line block ×4, first 2 shown]
	v_add_f64 v[58:59], v[62:63], v[58:59]
	v_add_f64 v[56:57], v[60:61], v[56:57]
	v_fma_f64 v[225:226], v[74:75], s[4:5], v[185:186]
	v_fma_f64 v[231:232], v[74:75], s[36:37], v[187:188]
	;; [unrolled: 1-line block ×8, first 2 shown]
	v_mul_f64 v[60:61], v[132:133], s[10:11]
	v_mul_f64 v[62:63], v[68:69], s[8:9]
	;; [unrolled: 1-line block ×4, first 2 shown]
	v_fma_f64 v[233:234], v[68:69], s[38:39], v[197:198]
	v_add_f64 v[181:182], v[195:196], -v[181:182]
	v_fma_f64 v[195:196], v[68:69], s[38:39], -v[197:198]
	v_fma_f64 v[197:198], v[78:79], s[36:37], v[213:214]
	v_mul_f64 v[191:192], v[132:133], s[20:21]
	v_mul_f64 v[132:133], v[68:69], s[10:11]
	;; [unrolled: 1-line block ×4, first 2 shown]
	v_add_f64 v[54:55], v[58:59], v[54:55]
	v_add_f64 v[52:53], v[56:57], v[52:53]
	v_fma_f64 v[58:59], v[68:69], s[28:29], v[193:194]
	v_add_f64 v[225:226], v[14:15], v[225:226]
	v_add_f64 v[187:188], v[14:15], v[187:188]
	v_fma_f64 v[193:194], v[68:69], s[28:29], -v[193:194]
	v_mul_f64 v[56:57], v[100:101], s[26:27]
	v_mul_f64 v[229:230], v[100:101], s[10:11]
	v_fma_f64 v[203:204], v[76:77], s[42:43], v[203:204]
	v_fma_f64 v[249:250], v[76:77], s[18:19], v[207:208]
	v_add_f64 v[185:186], v[14:15], v[185:186]
	v_add_f64 v[231:232], v[14:15], v[231:232]
	v_mul_f64 v[207:208], v[70:71], s[44:45]
	v_add_f64 v[116:117], v[116:117], v[199:200]
	v_add_f64 v[233:234], v[12:13], v[233:234]
	v_fma_f64 v[199:200], v[72:73], s[38:39], v[215:216]
	v_add_f64 v[62:63], v[62:63], -v[106:107]
	v_add_f64 v[60:61], v[94:95], v[60:61]
	v_fma_f64 v[94:95], v[64:65], s[20:21], -v[211:212]
	v_add_f64 v[106:107], v[12:13], v[195:196]
	v_fma_f64 v[195:196], v[84:85], s[4:5], v[223:224]
	v_mul_f64 v[201:202], v[66:67], s[28:29]
	v_add_f64 v[46:47], v[54:55], v[46:47]
	v_add_f64 v[44:45], v[52:53], v[44:45]
	v_fma_f64 v[52:53], v[64:65], s[10:11], v[205:206]
	v_add_f64 v[54:55], v[12:13], v[58:59]
	v_add_f64 v[225:226], v[247:248], v[225:226]
	v_fma_f64 v[247:248], v[78:79], s[44:45], v[217:218]
	v_fma_f64 v[217:218], v[78:79], s[0:1], v[217:218]
	v_fma_f64 v[58:59], v[64:65], s[10:11], -v[205:206]
	v_fma_f64 v[205:206], v[64:65], s[20:21], v[211:212]
	v_add_f64 v[193:194], v[12:13], v[193:194]
	v_mul_f64 v[227:228], v[96:97], s[22:23]
	v_mul_f64 v[237:238], v[80:81], s[10:11]
	v_mul_f64 v[243:244], v[64:65], s[8:9]
	v_add_f64 v[183:184], v[183:184], v[191:192]
	v_mul_f64 v[191:192], v[70:71], s[4:5]
	v_fma_f64 v[213:214], v[78:79], s[40:41], v[213:214]
	v_add_f64 v[185:186], v[203:204], v[185:186]
	v_mul_f64 v[98:99], v[98:99], s[36:37]
	v_mul_f64 v[239:240], v[80:81], s[26:27]
	v_add_f64 v[94:95], v[94:95], v[106:107]
	v_fma_f64 v[106:107], v[86:87], s[30:31], v[56:57]
	v_add_f64 v[181:182], v[12:13], v[181:182]
	v_add_f64 v[42:43], v[46:47], v[42:43]
	;; [unrolled: 1-line block ×5, first 2 shown]
	v_fma_f64 v[46:47], v[68:69], s[26:27], v[134:135]
	v_fma_f64 v[68:69], v[68:69], s[26:27], -v[134:135]
	v_fma_f64 v[134:135], v[84:85], s[0:1], v[221:222]
	v_add_f64 v[197:198], v[197:198], v[225:226]
	v_add_f64 v[203:204], v[205:206], v[233:234]
	;; [unrolled: 1-line block ×4, first 2 shown]
	v_fma_f64 v[205:206], v[90:91], s[8:9], v[207:208]
	v_fma_f64 v[187:188], v[84:85], s[44:45], v[221:222]
	;; [unrolled: 1-line block ×3, first 2 shown]
	v_add_f64 v[62:63], v[12:13], v[62:63]
	v_add_f64 v[104:105], v[243:244], -v[104:105]
	v_add_f64 v[185:186], v[213:214], v[185:186]
	v_fma_f64 v[215:216], v[72:73], s[38:39], -v[215:216]
	v_fma_f64 v[54:55], v[72:73], s[8:9], v[219:220]
	v_add_f64 v[116:117], v[14:15], v[116:117]
	v_mul_f64 v[241:242], v[112:113], s[20:21]
	v_mul_f64 v[235:236], v[96:97], s[42:43]
	v_add_f64 v[38:39], v[42:43], v[38:39]
	v_add_f64 v[36:37], v[40:41], v[36:37]
	;; [unrolled: 1-line block ×4, first 2 shown]
	v_add_f64 v[42:43], v[132:133], -v[92:93]
	v_fma_f64 v[44:45], v[76:77], s[40:41], v[209:210]
	v_fma_f64 v[76:77], v[76:77], s[36:37], v[209:210]
	v_fma_f64 v[132:133], v[72:73], s[8:9], -v[219:220]
	v_fma_f64 v[209:210], v[86:87], s[42:43], v[229:230]
	v_add_f64 v[134:135], v[134:135], v[197:198]
	v_add_f64 v[193:194], v[247:248], v[193:194]
	;; [unrolled: 1-line block ×3, first 2 shown]
	v_fma_f64 v[179:180], v[88:89], s[26:27], v[227:228]
	v_add_f64 v[46:47], v[12:13], v[46:47]
	v_add_f64 v[68:69], v[12:13], v[68:69]
	v_mul_f64 v[96:97], v[96:97], s[4:5]
	v_add_f64 v[185:186], v[187:188], v[185:186]
	v_mul_f64 v[70:71], v[70:71], s[18:19]
	v_fma_f64 v[56:57], v[86:87], s[22:23], v[56:57]
	v_fma_f64 v[207:208], v[90:91], s[8:9], -v[207:208]
	v_add_f64 v[58:59], v[215:216], v[58:59]
	v_fma_f64 v[211:212], v[90:91], s[28:29], v[191:192]
	v_add_f64 v[34:35], v[38:39], v[34:35]
	v_add_f64 v[32:33], v[36:37], v[32:33]
	;; [unrolled: 1-line block ×5, first 2 shown]
	v_fma_f64 v[74:75], v[90:91], s[28:29], -v[191:192]
	v_add_f64 v[12:13], v[12:13], v[42:43]
	v_add_f64 v[94:95], v[132:133], v[94:95]
	;; [unrolled: 1-line block ×4, first 2 shown]
	v_mul_f64 v[134:135], v[72:73], s[20:21]
	v_add_f64 v[187:188], v[189:190], v[193:194]
	v_fma_f64 v[38:39], v[64:65], s[38:39], v[98:99]
	v_add_f64 v[189:190], v[14:15], v[245:246]
	v_add_f64 v[106:107], v[175:176], v[239:240]
	v_mul_f64 v[175:176], v[72:73], s[28:29]
	v_add_f64 v[14:15], v[14:15], v[60:61]
	v_mul_f64 v[183:184], v[88:89], s[8:9]
	v_add_f64 v[54:55], v[54:55], v[203:204]
	v_mov_b32_e32 v217, v164
	v_add_f64 v[56:57], v[56:57], v[185:186]
	v_fma_f64 v[185:186], v[88:89], s[10:11], -v[235:236]
	v_add_f64 v[30:31], v[34:35], v[30:31]
	v_add_f64 v[28:29], v[32:33], v[28:29]
	;; [unrolled: 1-line block ×3, first 2 shown]
	v_mul_f64 v[34:35], v[66:67], s[26:27]
	v_add_f64 v[36:37], v[76:77], v[40:41]
	v_fma_f64 v[40:41], v[78:79], s[42:43], v[237:238]
	v_mul_f64 v[76:77], v[82:83], s[42:43]
	v_mul_f64 v[82:83], v[64:65], s[28:29]
	v_add_f64 v[52:53], v[179:180], v[52:53]
	v_add_f64 v[74:75], v[74:75], v[94:95]
	v_mul_f64 v[94:95], v[64:65], s[26:27]
	v_fma_f64 v[64:65], v[64:65], s[38:39], -v[98:99]
	v_mul_f64 v[98:99], v[112:113], s[10:11]
	v_add_f64 v[92:93], v[92:93], v[132:133]
	v_mul_f64 v[132:133], v[80:81], s[20:21]
	v_mul_f64 v[80:81], v[80:81], s[28:29]
	;; [unrolled: 1-line block ×3, first 2 shown]
	v_add_f64 v[114:115], v[134:135], -v[114:115]
	v_add_f64 v[12:13], v[104:105], v[12:13]
	v_fma_f64 v[78:79], v[78:79], s[16:17], v[237:238]
	v_add_f64 v[44:45], v[44:45], v[189:190]
	v_add_f64 v[38:39], v[38:39], v[46:47]
	v_fma_f64 v[46:47], v[84:85], s[34:35], v[241:242]
	v_add_f64 v[128:129], v[175:176], -v[128:129]
	v_add_f64 v[26:27], v[30:31], v[26:27]
	v_add_f64 v[34:35], v[122:123], v[34:35]
	;; [unrolled: 1-line block ×4, first 2 shown]
	v_fma_f64 v[40:41], v[72:73], s[10:11], v[76:77]
	v_fma_f64 v[72:73], v[72:73], s[10:11], -v[76:77]
	v_mul_f64 v[76:77], v[90:91], s[26:27]
	v_add_f64 v[82:83], v[82:83], -v[126:127]
	v_add_f64 v[94:95], v[94:95], -v[110:111]
	v_add_f64 v[64:65], v[64:65], v[68:69]
	v_add_f64 v[98:99], v[177:178], v[98:99]
	v_mul_f64 v[177:178], v[88:89], s[38:39]
	v_add_f64 v[92:93], v[106:107], v[92:93]
	v_mul_f64 v[106:107], v[100:101], s[38:39]
	v_add_f64 v[80:81], v[150:151], v[80:81]
	v_add_f64 v[142:143], v[179:180], -v[142:143]
	v_add_f64 v[12:13], v[114:115], v[12:13]
	v_mul_f64 v[66:67], v[66:67], s[8:9]
	v_add_f64 v[44:45], v[78:79], v[44:45]
	v_mul_f64 v[126:127], v[112:113], s[26:27]
	v_mul_f64 v[112:113], v[112:113], s[38:39]
	;; [unrolled: 1-line block ×3, first 2 shown]
	v_add_f64 v[118:119], v[118:119], v[132:133]
	v_add_f64 v[34:35], v[34:35], v[116:117]
	v_mul_f64 v[116:117], v[120:121], s[34:35]
	v_mul_f64 v[68:69], v[90:91], s[38:39]
	;; [unrolled: 1-line block ×3, first 2 shown]
	v_fma_f64 v[84:85], v[84:85], s[18:19], v[241:242]
	v_add_f64 v[76:77], v[76:77], -v[124:125]
	v_add_f64 v[82:83], v[82:83], v[181:182]
	v_add_f64 v[62:63], v[94:95], v[62:63]
	;; [unrolled: 1-line block ×5, first 2 shown]
	v_mul_f64 v[110:111], v[173:174], s[20:21]
	v_mul_f64 v[179:180], v[130:131], s[28:29]
	;; [unrolled: 1-line block ×5, first 2 shown]
	v_add_f64 v[66:67], v[108:109], v[66:67]
	v_add_f64 v[44:45], v[46:47], v[44:45]
	v_fma_f64 v[46:47], v[88:89], s[28:29], v[96:97]
	v_add_f64 v[112:113], v[165:166], v[112:113]
	v_add_f64 v[122:123], v[122:123], -v[171:172]
	v_mul_f64 v[171:172], v[100:101], s[8:9]
	v_add_f64 v[34:35], v[80:81], v[34:35]
	v_fma_f64 v[80:81], v[130:131], s[20:21], v[116:117]
	v_mul_f64 v[100:101], v[100:101], s[28:29]
	v_add_f64 v[126:127], v[138:139], v[126:127]
	v_mul_f64 v[108:109], v[88:89], s[20:21]
	v_add_f64 v[12:13], v[76:77], v[12:13]
	v_add_f64 v[30:31], v[142:143], v[82:83]
	;; [unrolled: 1-line block ×4, first 2 shown]
	v_add_f64 v[106:107], v[177:178], -v[136:137]
	v_add_f64 v[28:29], v[128:129], v[62:63]
	v_add_f64 v[62:63], v[72:73], v[64:65]
	v_fma_f64 v[72:73], v[88:89], s[28:29], -v[96:97]
	v_add_f64 v[68:69], v[68:69], -v[152:153]
	v_add_f64 v[36:37], v[84:85], v[36:37]
	v_mul_f64 v[132:133], v[130:131], s[10:11]
	v_add_f64 v[14:15], v[66:67], v[14:15]
	v_mul_f64 v[66:67], v[173:174], s[10:11]
	v_mul_f64 v[173:174], v[173:174], s[8:9]
	;; [unrolled: 1-line block ×3, first 2 shown]
	v_add_f64 v[84:85], v[183:184], -v[162:163]
	v_add_f64 v[78:79], v[167:168], v[171:172]
	v_add_f64 v[34:35], v[112:113], v[34:35]
	v_mul_f64 v[64:65], v[120:121], s[44:45]
	v_fma_f64 v[40:41], v[86:87], s[4:5], v[100:101]
	v_mul_f64 v[164:165], v[120:121], s[22:23]
	v_add_f64 v[92:93], v[108:109], -v[146:147]
	v_fma_f64 v[199:200], v[88:89], s[26:27], -v[227:228]
	v_add_f64 v[26:27], v[122:123], v[30:31]
	v_add_f64 v[58:59], v[207:208], v[58:59]
	v_fma_f64 v[201:202], v[86:87], s[16:17], v[229:230]
	v_add_f64 v[96:97], v[106:107], v[12:13]
	v_add_f64 v[12:13], v[80:81], v[52:53]
	buffer_load_dword v53, off, s[48:51], 0 offset:12 ; 4-byte Folded Reload
	v_fma_f64 v[203:204], v[88:89], s[10:11], v[235:236]
	v_add_f64 v[24:25], v[68:69], v[28:29]
	v_add_f64 v[54:55], v[211:212], v[54:55]
	v_fma_f64 v[30:31], v[86:87], s[24:25], v[100:101]
	v_add_f64 v[14:15], v[118:119], v[14:15]
	v_fma_f64 v[118:119], v[90:91], s[20:21], -v[70:71]
	v_fma_f64 v[70:71], v[90:91], s[20:21], v[70:71]
	v_add_f64 v[90:91], v[154:155], v[150:151]
	v_add_f64 v[20:21], v[20:21], v[16:17]
	v_add_f64 v[88:89], v[179:180], -v[144:145]
	v_fma_f64 v[152:153], v[102:103], s[30:31], v[181:182]
	v_fma_f64 v[181:182], v[102:103], s[22:23], v[181:182]
	v_add_f64 v[36:37], v[40:41], v[36:37]
	v_add_f64 v[66:67], v[158:159], v[66:67]
	;; [unrolled: 1-line block ×3, first 2 shown]
	v_add_f64 v[76:77], v[134:135], -v[160:161]
	v_add_f64 v[84:85], v[84:85], v[26:27]
	v_fma_f64 v[40:41], v[130:131], s[8:9], -v[64:65]
	v_fma_f64 v[138:139], v[130:131], s[26:27], v[164:165]
	v_fma_f64 v[164:165], v[130:131], s[26:27], -v[164:165]
	v_add_f64 v[74:75], v[185:186], v[74:75]
	v_add_f64 v[58:59], v[199:200], v[58:59]
	v_fma_f64 v[94:95], v[102:103], s[18:19], v[110:111]
	v_add_f64 v[24:25], v[92:93], v[24:25]
	v_fma_f64 v[110:111], v[102:103], s[34:35], v[110:111]
	v_fma_f64 v[116:117], v[130:131], s[20:21], -v[116:117]
	v_add_f64 v[14:15], v[126:127], v[14:15]
	v_add_f64 v[28:29], v[118:119], v[62:63]
	;; [unrolled: 1-line block ×5, first 2 shown]
	v_fma_f64 v[62:63], v[102:103], s[44:45], v[173:174]
	v_add_f64 v[70:71], v[78:79], v[82:83]
	v_add_f64 v[82:83], v[148:149], v[175:176]
	v_add_f64 v[78:79], v[132:133], -v[156:157]
	v_add_f64 v[60:61], v[201:202], v[187:188]
	v_add_f64 v[54:55], v[203:204], v[54:55]
	v_fma_f64 v[92:93], v[102:103], s[0:1], v[173:174]
	v_add_f64 v[44:45], v[30:31], v[44:45]
	v_fma_f64 v[64:65], v[130:131], s[8:9], v[64:65]
	v_add_f64 v[4:5], v[20:21], v[4:5]
	v_add_f64 v[22:23], v[181:182], v[32:33]
	;; [unrolled: 1-line block ×3, first 2 shown]
	v_mov_b32_e32 v52, 4
	v_add_f64 v[18:19], v[110:111], v[56:57]
	v_add_f64 v[16:17], v[116:117], v[58:59]
	;; [unrolled: 1-line block ×19, first 2 shown]
	s_waitcnt vmcnt(0)
	v_lshlrev_b32_sdwa v52, v52, v53 dst_sel:DWORD dst_unused:UNUSED_PAD src0_sel:DWORD src1_sel:WORD_0
	ds_write_b128 v52, v[4:7]
	ds_write_b128 v52, v[36:39] offset:16
	ds_write_b128 v52, v[32:35] offset:32
	;; [unrolled: 1-line block ×12, first 2 shown]
.LBB0_7:
	s_or_b32 exec_lo, exec_lo, s33
	s_waitcnt lgkmcnt(0)
	s_barrier
	buffer_gl0_inv
	ds_read_b128 v[4:7], v255
	ds_read_b128 v[12:15], v255 offset:2496
	ds_read_b128 v[52:55], v255 offset:16224
	;; [unrolled: 1-line block ×9, first 2 shown]
	v_cmp_gt_u16_e64 s0, 0x4e, v217
	s_and_saveexec_b32 s1, s0
	s_cbranch_execz .LBB0_9
; %bb.8:
	ds_read_b128 v[8:11], v255 offset:12480
	ds_read_b128 v[48:51], v255 offset:26208
.LBB0_9:
	s_or_b32 exec_lo, exec_lo, s1
	v_and_b32_e32 v24, 0xff, v217
	v_add_co_u32 v25, null, 0x138, v217
	v_add_nc_u16 v80, v217, 0x9c
	v_mov_b32_e32 v27, 0x4ec5
	v_mul_lo_u16 v24, 0x4f, v24
	v_add_co_u32 v26, null, 0x1d4, v217
	v_add_co_u32 v28, null, 0x270, v217
	v_lshrrev_b16 v104, 10, v24
	v_mul_u32_u24_sdwa v29, v80, v27 dst_sel:DWORD dst_unused:UNUSED_PAD src0_sel:WORD_0 src1_sel:DWORD
	v_mul_u32_u24_sdwa v30, v25, v27 dst_sel:DWORD dst_unused:UNUSED_PAD src0_sel:WORD_0 src1_sel:DWORD
	v_add_nc_u16 v24, v217, 0x30c
	v_mul_u32_u24_sdwa v32, v26, v27 dst_sel:DWORD dst_unused:UNUSED_PAD src0_sel:WORD_0 src1_sel:DWORD
	v_mul_lo_u16 v31, v104, 13
	v_mul_u32_u24_sdwa v33, v28, v27 dst_sel:DWORD dst_unused:UNUSED_PAD src0_sel:WORD_0 src1_sel:DWORD
	v_lshrrev_b32_e32 v105, 18, v29
	v_lshrrev_b32_e32 v106, 18, v30
	v_mul_u32_u24_sdwa v27, v24, v27 dst_sel:DWORD dst_unused:UNUSED_PAD src0_sel:WORD_0 src1_sel:DWORD
	v_sub_nc_u16 v29, v217, v31
	v_lshrrev_b32_e32 v107, 18, v32
	v_lshrrev_b32_e32 v108, 18, v33
	v_mul_lo_u16 v30, v105, 13
	v_lshrrev_b32_e32 v110, 18, v27
	v_and_b32_e32 v109, 0xff, v29
	v_mul_lo_u16 v29, v106, 13
	v_mul_lo_u16 v27, v107, 13
	v_mov_b32_e32 v81, 4
	v_sub_nc_u16 v111, v80, v30
	v_lshlrev_b32_e32 v30, 4, v109
	v_sub_nc_u16 v112, v25, v29
	v_mul_lo_u16 v25, v108, 13
	v_mul_lo_u16 v29, v110, 13
	v_sub_nc_u16 v113, v26, v27
	v_lshlrev_b32_sdwa v31, v81, v111 dst_sel:DWORD dst_unused:UNUSED_PAD src0_sel:DWORD src1_sel:WORD_0
	v_lshlrev_b32_sdwa v26, v81, v112 dst_sel:DWORD dst_unused:UNUSED_PAD src0_sel:DWORD src1_sel:WORD_0
	v_sub_nc_u16 v114, v28, v25
	v_sub_nc_u16 v115, v24, v29
	v_lshlrev_b32_sdwa v24, v81, v113 dst_sel:DWORD dst_unused:UNUSED_PAD src0_sel:DWORD src1_sel:WORD_0
	s_clause 0x1
	global_load_dwordx4 v[32:35], v30, s[2:3]
	global_load_dwordx4 v[40:43], v26, s[2:3]
	v_lshlrev_b32_sdwa v25, v81, v114 dst_sel:DWORD dst_unused:UNUSED_PAD src0_sel:DWORD src1_sel:WORD_0
	v_lshlrev_b32_sdwa v26, v81, v115 dst_sel:DWORD dst_unused:UNUSED_PAD src0_sel:DWORD src1_sel:WORD_0
	s_clause 0x3
	global_load_dwordx4 v[36:39], v31, s[2:3]
	global_load_dwordx4 v[44:47], v24, s[2:3]
	;; [unrolled: 1-line block ×4, first 2 shown]
	s_load_dwordx4 s[4:7], s[6:7], 0x0
	s_waitcnt vmcnt(5) lgkmcnt(0)
	v_mul_f64 v[76:77], v[74:75], v[34:35]
	v_mul_f64 v[78:79], v[72:73], v[34:35]
	s_waitcnt vmcnt(4)
	v_mul_f64 v[86:87], v[62:63], v[42:43]
	v_mul_f64 v[88:89], v[60:61], v[42:43]
	s_waitcnt vmcnt(3)
	v_mul_f64 v[82:83], v[54:55], v[38:39]
	v_mul_f64 v[84:85], v[52:53], v[38:39]
	s_waitcnt vmcnt(2)
	v_mul_f64 v[90:91], v[70:71], v[46:47]
	v_mul_f64 v[92:93], v[68:69], v[46:47]
	s_waitcnt vmcnt(1)
	v_mul_f64 v[94:95], v[66:67], v[30:31]
	v_mul_f64 v[96:97], v[64:65], v[30:31]
	s_waitcnt vmcnt(0)
	v_mul_f64 v[98:99], v[50:51], v[26:27]
	v_mul_f64 v[100:101], v[48:49], v[26:27]
	v_fma_f64 v[72:73], v[72:73], v[32:33], -v[76:77]
	v_fma_f64 v[74:75], v[74:75], v[32:33], v[78:79]
	v_fma_f64 v[60:61], v[60:61], v[40:41], -v[86:87]
	v_fma_f64 v[62:63], v[62:63], v[40:41], v[88:89]
	;; [unrolled: 2-line block ×6, first 2 shown]
	v_add_f64 v[64:65], v[4:5], -v[72:73]
	v_add_f64 v[66:67], v[6:7], -v[74:75]
	;; [unrolled: 1-line block ×12, first 2 shown]
	v_mov_b32_e32 v48, 26
	v_mad_u16 v83, v105, 26, v111
	v_mad_u16 v84, v106, 26, v112
	v_mul_u32_u24_sdwa v82, v104, v48 dst_sel:DWORD dst_unused:UNUSED_PAD src0_sel:WORD_0 src1_sel:DWORD
	v_fma_f64 v[4:5], v[4:5], 2.0, -v[64:65]
	v_fma_f64 v[6:7], v[6:7], 2.0, -v[66:67]
	;; [unrolled: 1-line block ×12, first 2 shown]
	v_mad_u16 v8, v107, 26, v113
	v_mad_u16 v9, v108, 26, v114
	;; [unrolled: 1-line block ×3, first 2 shown]
	v_add_lshl_u32 v17, v82, v109, 4
	v_lshlrev_b32_sdwa v16, v81, v83 dst_sel:DWORD dst_unused:UNUSED_PAD src0_sel:DWORD src1_sel:WORD_0
	v_lshlrev_b32_sdwa v11, v81, v84 dst_sel:DWORD dst_unused:UNUSED_PAD src0_sel:DWORD src1_sel:WORD_0
	buffer_store_dword v10, off, s[48:51], 0 offset:16 ; 4-byte Folded Spill
	v_lshlrev_b32_sdwa v10, v81, v8 dst_sel:DWORD dst_unused:UNUSED_PAD src0_sel:DWORD src1_sel:WORD_0
	v_lshlrev_b32_sdwa v8, v81, v9 dst_sel:DWORD dst_unused:UNUSED_PAD src0_sel:DWORD src1_sel:WORD_0
	s_waitcnt_vscnt null, 0x0
	s_barrier
	buffer_gl0_inv
	ds_write_b128 v17, v[64:67] offset:208
	buffer_store_dword v17, off, s[48:51], 0 offset:36 ; 4-byte Folded Spill
	ds_write_b128 v17, v[4:7]
	ds_write_b128 v16, v[12:15]
	buffer_store_dword v16, off, s[48:51], 0 offset:32 ; 4-byte Folded Spill
	ds_write_b128 v16, v[68:71] offset:208
	ds_write_b128 v11, v[20:23]
	buffer_store_dword v11, off, s[48:51], 0 offset:28 ; 4-byte Folded Spill
	ds_write_b128 v11, v[72:75] offset:208
	;; [unrolled: 3-line block ×4, first 2 shown]
	s_and_saveexec_b32 s1, s0
	s_cbranch_execz .LBB0_11
; %bb.10:
	buffer_load_dword v4, off, s[48:51], 0 offset:16 ; 4-byte Folded Reload
	s_waitcnt vmcnt(0)
	v_lshlrev_b32_sdwa v4, v81, v4 dst_sel:DWORD dst_unused:UNUSED_PAD src0_sel:DWORD src1_sel:WORD_0
	ds_write_b128 v4, v[60:63]
	ds_write_b128 v4, v[100:103] offset:208
.LBB0_11:
	s_or_b32 exec_lo, exec_lo, s1
	s_waitcnt lgkmcnt(0)
	s_waitcnt_vscnt null, 0x0
	s_barrier
	buffer_gl0_inv
	ds_read_b128 v[64:67], v255
	ds_read_b128 v[104:107], v255 offset:4576
	ds_read_b128 v[68:71], v255 offset:9152
	;; [unrolled: 1-line block ×5, first 2 shown]
	v_cmp_gt_u16_e64 s1, 0x82, v217
	s_and_saveexec_b32 s8, s1
	s_cbranch_execz .LBB0_13
; %bb.12:
	ds_read_b128 v[48:51], v255 offset:2496
	ds_read_b128 v[52:55], v255 offset:7072
	;; [unrolled: 1-line block ×6, first 2 shown]
.LBB0_13:
	s_or_b32 exec_lo, exec_lo, s8
	v_and_b32_e32 v4, 0xff, v217
	v_mov_b32_e32 v5, 0x4ec5
	s_mov_b32 s11, 0xbfebb67a
	v_mul_lo_u16 v4, 0x4f, v4
	v_mul_u32_u24_sdwa v5, v80, v5 dst_sel:DWORD dst_unused:UNUSED_PAD src0_sel:WORD_0 src1_sel:DWORD
	v_lshrrev_b16 v4, 11, v4
	v_lshrrev_b32_e32 v5, 19, v5
	v_mul_lo_u16 v6, v4, 26
	v_mul_lo_u16 v7, v5, 26
	v_sub_nc_u16 v6, v217, v6
	v_sub_nc_u16 v7, v80, v7
	v_and_b32_e32 v6, 0xff, v6
	v_mul_lo_u16 v10, 0x50, v7
	v_mad_u64_u32 v[8:9], null, 0x50, v6, s[2:3]
	v_and_b32_e32 v10, 0xffff, v10
	s_clause 0x1
	global_load_dwordx4 v[80:83], v[8:9], off offset:240
	global_load_dwordx4 v[84:87], v[8:9], off offset:272
	v_add_co_u32 v10, s8, s2, v10
	v_add_co_ci_u32_e64 v11, null, s3, 0, s8
	s_clause 0x7
	global_load_dwordx4 v[136:139], v[10:11], off offset:240
	global_load_dwordx4 v[20:23], v[10:11], off offset:272
	;; [unrolled: 1-line block ×8, first 2 shown]
	s_mov_b32 s8, 0xe8584caa
	s_mov_b32 s9, 0x3febb67a
	;; [unrolled: 1-line block ×3, first 2 shown]
	s_waitcnt vmcnt(9) lgkmcnt(2)
	v_mul_f64 v[118:119], v[108:109], v[82:83]
	s_waitcnt vmcnt(8) lgkmcnt(0)
	v_mul_f64 v[122:123], v[114:115], v[86:87]
	s_waitcnt vmcnt(7)
	v_mul_f64 v[124:125], v[78:79], v[138:139]
	v_mul_f64 v[116:117], v[110:111], v[82:83]
	;; [unrolled: 1-line block ×4, first 2 shown]
	s_waitcnt vmcnt(6)
	v_mul_f64 v[128:129], v[102:103], v[22:23]
	v_mul_f64 v[130:131], v[100:101], v[22:23]
	s_waitcnt vmcnt(5)
	v_mul_f64 v[132:133], v[106:107], v[90:91]
	v_mul_f64 v[134:135], v[104:105], v[90:91]
	v_fma_f64 v[110:111], v[110:111], v[80:81], v[118:119]
	v_fma_f64 v[118:119], v[112:113], v[84:85], -v[122:123]
	v_fma_f64 v[112:113], v[76:77], v[136:137], -v[124:125]
	buffer_store_dword v136, off, s[48:51], 0 offset:44 ; 4-byte Folded Spill
	buffer_store_dword v137, off, s[48:51], 0 offset:48 ; 4-byte Folded Spill
	;; [unrolled: 1-line block ×4, first 2 shown]
	v_fma_f64 v[108:109], v[108:109], v[80:81], -v[116:117]
	v_fma_f64 v[116:117], v[114:115], v[84:85], v[120:121]
	v_fma_f64 v[76:77], v[100:101], v[20:21], -v[128:129]
	buffer_store_dword v20, off, s[48:51], 0 offset:108 ; 4-byte Folded Spill
	buffer_store_dword v21, off, s[48:51], 0 offset:112 ; 4-byte Folded Spill
	buffer_store_dword v22, off, s[48:51], 0 offset:116 ; 4-byte Folded Spill
	buffer_store_dword v23, off, s[48:51], 0 offset:120 ; 4-byte Folded Spill
	s_waitcnt vmcnt(4)
	v_mul_f64 v[120:121], v[54:55], v[18:19]
	v_mul_f64 v[122:123], v[52:53], v[18:19]
	s_waitcnt vmcnt(3)
	v_mul_f64 v[100:101], v[70:71], v[98:99]
	v_fma_f64 v[128:129], v[104:105], v[88:89], -v[132:133]
	s_waitcnt vmcnt(1)
	v_mul_f64 v[132:133], v[58:59], v[14:15]
	v_fma_f64 v[106:107], v[106:107], v[88:89], v[134:135]
	v_mul_f64 v[134:135], v[56:57], v[14:15]
	s_waitcnt vmcnt(0)
	v_mul_f64 v[138:139], v[60:61], v[10:11]
	v_mul_f64 v[124:125], v[74:75], v[94:95]
	v_add_f64 v[144:145], v[108:109], -v[118:119]
	v_add_f64 v[104:105], v[110:111], v[116:117]
	v_add_f64 v[142:143], v[110:111], -v[116:117]
	v_fma_f64 v[52:53], v[52:53], v[16:17], -v[120:121]
	buffer_store_dword v16, off, s[48:51], 0 offset:92 ; 4-byte Folded Spill
	buffer_store_dword v17, off, s[48:51], 0 offset:96 ; 4-byte Folded Spill
	;; [unrolled: 1-line block ×4, first 2 shown]
	v_fma_f64 v[140:141], v[68:69], v[96:97], -v[100:101]
	v_add_f64 v[120:121], v[112:113], v[76:77]
	v_add_f64 v[110:111], v[106:107], v[110:111]
	v_fma_f64 v[124:125], v[72:73], v[92:93], -v[124:125]
	v_fma_f64 v[146:147], v[104:105], -0.5, v[106:107]
	v_add_f64 v[104:105], v[112:113], -v[76:77]
	v_add_f64 v[110:111], v[110:111], v[116:117]
	v_fma_f64 v[114:115], v[78:79], v[136:137], v[126:127]
	v_mul_f64 v[136:137], v[62:63], v[10:11]
	v_mul_f64 v[126:127], v[72:73], v[94:95]
	v_fma_f64 v[72:73], v[120:121], -0.5, v[52:53]
	v_fma_f64 v[78:79], v[102:103], v[20:21], v[130:131]
	v_mul_f64 v[102:103], v[68:69], v[98:99]
	v_fma_f64 v[68:69], v[56:57], v[12:13], -v[132:133]
	buffer_store_dword v12, off, s[48:51], 0 offset:76 ; 4-byte Folded Spill
	buffer_store_dword v13, off, s[48:51], 0 offset:80 ; 4-byte Folded Spill
	;; [unrolled: 1-line block ×4, first 2 shown]
	v_add_f64 v[130:131], v[108:109], v[118:119]
	v_fma_f64 v[120:121], v[144:145], s[10:11], v[146:147]
	v_fma_f64 v[132:133], v[144:145], s[8:9], v[146:147]
	v_add_f64 v[144:145], v[64:65], v[140:141]
	v_add_f64 v[108:109], v[128:129], v[108:109]
	v_fma_f64 v[56:57], v[60:61], v[8:9], -v[136:137]
	buffer_store_dword v8, off, s[48:51], 0 offset:60 ; 4-byte Folded Spill
	buffer_store_dword v9, off, s[48:51], 0 offset:64 ; 4-byte Folded Spill
	;; [unrolled: 1-line block ×4, first 2 shown]
	v_fma_f64 v[126:127], v[74:75], v[92:93], v[126:127]
	v_add_f64 v[100:101], v[114:115], -v[78:79]
	v_fma_f64 v[102:103], v[70:71], v[96:97], v[102:103]
	v_fma_f64 v[54:55], v[54:55], v[16:17], v[122:123]
	v_add_f64 v[122:123], v[114:115], v[78:79]
	v_fma_f64 v[130:131], v[130:131], -0.5, v[128:129]
	v_add_f64 v[60:61], v[140:141], v[124:125]
	v_add_f64 v[140:141], v[140:141], -v[124:125]
	v_mul_f64 v[154:155], v[132:133], -0.5
	v_add_f64 v[124:125], v[144:145], v[124:125]
	v_add_f64 v[108:109], v[108:109], v[118:119]
	v_add_f64 v[106:107], v[68:69], -v[56:57]
	v_add_f64 v[146:147], v[102:103], -v[126:127]
	v_add_f64 v[148:149], v[66:67], v[102:103]
	v_fma_f64 v[74:75], v[122:123], -0.5, v[54:55]
	v_fma_f64 v[122:123], v[142:143], s[10:11], v[130:131]
	v_fma_f64 v[130:131], v[142:143], s[8:9], v[130:131]
	v_fma_f64 v[128:129], v[60:61], -0.5, v[64:65]
	v_fma_f64 v[142:143], v[104:105], s[8:9], v[74:75]
	v_mul_f64 v[150:151], v[122:123], -0.5
	v_mul_f64 v[152:153], v[130:131], s[10:11]
	v_fma_f64 v[144:145], v[146:147], s[8:9], v[128:129]
	v_fma_f64 v[146:147], v[146:147], s[10:11], v[128:129]
	;; [unrolled: 1-line block ×4, first 2 shown]
	v_fma_f64 v[152:153], v[120:121], 0.5, v[152:153]
	v_add_f64 v[132:133], v[146:147], v[150:151]
	v_fma_f64 v[70:71], v[58:59], v[12:13], v[134:135]
	v_add_f64 v[134:135], v[68:69], v[56:57]
	v_fma_f64 v[58:59], v[62:63], v[8:9], v[138:139]
	;; [unrolled: 2-line block ×3, first 2 shown]
	v_add_f64 v[126:127], v[148:149], v[126:127]
	v_mov_b32_e32 v8, 0x9c
	v_fma_f64 v[60:61], v[134:135], -0.5, v[48:49]
	v_mul_u32_u24_sdwa v4, v4, v8 dst_sel:DWORD dst_unused:UNUSED_PAD src0_sel:WORD_0 src1_sel:DWORD
	v_add_lshl_u32 v164, v4, v6, 4
	v_mad_u16 v4, 0x9c, v5, v7
	buffer_store_dword v4, off, s[48:51], 0 offset:40 ; 4-byte Folded Spill
	s_waitcnt_vscnt null, 0x0
	v_add_f64 v[136:137], v[70:71], v[58:59]
	v_fma_f64 v[62:63], v[62:63], -0.5, v[66:67]
	v_mul_f64 v[66:67], v[120:121], s[8:9]
	v_add_f64 v[102:103], v[70:71], -v[58:59]
	v_mul_f64 v[134:135], v[138:139], -0.5
	v_add_f64 v[120:121], v[124:125], v[108:109]
	v_add_f64 v[122:123], v[126:127], v[110:111]
	v_add_f64 v[124:125], v[124:125], -v[108:109]
	v_add_f64 v[126:127], v[126:127], -v[110:111]
	s_barrier
	buffer_gl0_inv
	v_fma_f64 v[64:65], v[136:137], -0.5, v[50:51]
	v_mul_f64 v[136:137], v[142:143], -0.5
	v_fma_f64 v[148:149], v[140:141], s[10:11], v[62:63]
	v_fma_f64 v[156:157], v[140:141], s[8:9], v[62:63]
	v_fma_f64 v[140:141], v[130:131], 0.5, v[66:67]
	v_fma_f64 v[62:63], v[102:103], s[10:11], v[60:61]
	v_fma_f64 v[66:67], v[142:143], s[8:9], v[134:135]
	;; [unrolled: 1-line block ×4, first 2 shown]
	v_add_f64 v[130:131], v[148:149], v[152:153]
	v_add_f64 v[134:135], v[156:157], v[154:155]
	;; [unrolled: 1-line block ×3, first 2 shown]
	v_add_f64 v[136:137], v[144:145], -v[140:141]
	v_add_f64 v[108:109], v[62:63], -v[66:67]
	;; [unrolled: 1-line block ×5, first 2 shown]
	ds_write_b128 v164, v[120:123]
	ds_write_b128 v164, v[124:127] offset:1248
	ds_write_b128 v164, v[128:131] offset:416
	;; [unrolled: 1-line block ×5, first 2 shown]
	v_add_f64 v[110:111], v[116:117], -v[118:119]
	s_and_saveexec_b32 s10, s1
	s_cbranch_execz .LBB0_15
; %bb.14:
	buffer_load_dword v5, off, s[48:51], 0 offset:40 ; 4-byte Folded Reload
	v_mul_f64 v[100:101], v[100:101], s[8:9]
	v_mul_f64 v[104:105], v[104:105], s[8:9]
	v_add_f64 v[50:51], v[50:51], v[70:71]
	v_add_f64 v[54:55], v[54:55], v[114:115]
	;; [unrolled: 1-line block ×4, first 2 shown]
	v_mul_f64 v[68:69], v[106:107], s[8:9]
	v_mov_b32_e32 v4, 4
	v_add_f64 v[72:73], v[100:101], v[72:73]
	v_add_f64 v[74:75], v[74:75], -v[104:105]
	v_mul_f64 v[100:101], v[102:103], s[8:9]
	v_add_f64 v[58:59], v[50:51], v[58:59]
	v_add_f64 v[78:79], v[54:55], v[78:79]
	;; [unrolled: 1-line block ×4, first 2 shown]
	v_add_f64 v[64:65], v[64:65], -v[68:69]
	v_add_f64 v[50:51], v[116:117], v[118:119]
	v_add_f64 v[48:49], v[62:63], v[66:67]
	v_mul_f64 v[70:71], v[72:73], s[8:9]
	v_mul_f64 v[102:103], v[74:75], s[8:9]
	v_add_f64 v[60:61], v[100:101], v[60:61]
	v_add_f64 v[54:55], v[58:59], -v[78:79]
	v_add_f64 v[58:59], v[58:59], v[78:79]
	v_add_f64 v[52:53], v[56:57], -v[76:77]
	v_add_f64 v[56:57], v[56:57], v[76:77]
	v_fma_f64 v[68:69], v[74:75], 0.5, -v[70:71]
	v_fma_f64 v[70:71], v[72:73], 0.5, v[102:103]
	v_add_f64 v[62:63], v[64:65], -v[68:69]
	v_add_f64 v[66:67], v[64:65], v[68:69]
	v_add_f64 v[64:65], v[60:61], v[70:71]
	v_add_f64 v[60:61], v[60:61], -v[70:71]
	s_waitcnt vmcnt(0)
	v_lshlrev_b32_sdwa v4, v4, v5 dst_sel:DWORD dst_unused:UNUSED_PAD src0_sel:DWORD src1_sel:WORD_0
	ds_write_b128 v4, v[48:51] offset:832
	ds_write_b128 v4, v[56:59]
	ds_write_b128 v4, v[52:55] offset:1248
	ds_write_b128 v4, v[64:67] offset:416
	;; [unrolled: 1-line block ×4, first 2 shown]
.LBB0_15:
	s_or_b32 exec_lo, exec_lo, s10
	v_mad_u64_u32 v[100:101], null, 0xa0, v217, s[2:3]
	buffer_store_dword v217, off, s[48:51], 0 offset:8 ; 4-byte Folded Spill
	s_waitcnt lgkmcnt(0)
	s_waitcnt_vscnt null, 0x0
	s_barrier
	buffer_gl0_inv
	s_mov_b32 s26, 0xf8bb580b
	s_mov_b32 s18, 0x43842ef
	v_add_co_u32 v102, s2, 0x800, v100
	v_add_co_ci_u32_e64 v103, s2, 0, v101, s2
	v_add_co_u32 v48, s2, 0x8f0, v100
	v_add_co_ci_u32_e64 v49, s2, 0, v101, s2
	v_add_co_u32 v76, s2, 0x930, v100
	s_clause 0x4
	global_load_dwordx4 v[72:75], v[102:103], off offset:240
	global_load_dwordx4 v[64:67], v[48:49], off offset:16
	;; [unrolled: 1-line block ×5, first 2 shown]
	v_add_co_ci_u32_e64 v77, s2, 0, v101, s2
	s_clause 0x1
	global_load_dwordx4 v[60:63], v[76:77], off offset:16
	global_load_dwordx4 v[68:71], v[76:77], off offset:32
	ds_read_b128 v[104:107], v255 offset:2496
	ds_read_b128 v[112:115], v255 offset:4992
	;; [unrolled: 1-line block ×3, first 2 shown]
	global_load_dwordx4 v[76:79], v[76:77], off offset:48
	v_add_co_u32 v144, s2, 0x970, v100
	ds_read_b128 v[128:131], v255 offset:12480
	v_add_co_ci_u32_e64 v145, s2, 0, v101, s2
	global_load_dwordx4 v[100:103], v[102:103], off offset:368
	ds_read_b128 v[120:123], v255
	ds_read_b128 v[124:127], v255 offset:9984
	s_mov_b32 s22, 0xbb3a28a1
	s_mov_b32 s28, 0xfd768dbf
	;; [unrolled: 1-line block ×24, first 2 shown]
	s_waitcnt vmcnt(8) lgkmcnt(5)
	v_mul_f64 v[132:133], v[106:107], v[74:75]
	v_mul_f64 v[134:135], v[104:105], v[74:75]
	s_waitcnt vmcnt(6) lgkmcnt(3)
	v_mul_f64 v[140:141], v[118:119], v[54:55]
	v_mul_f64 v[142:143], v[116:117], v[54:55]
	;; [unrolled: 1-line block ×4, first 2 shown]
	s_waitcnt vmcnt(5) lgkmcnt(0)
	v_mul_f64 v[150:151], v[126:127], v[50:51]
	v_mul_f64 v[152:153], v[124:125], v[50:51]
	v_fma_f64 v[146:147], v[104:105], v[72:73], -v[132:133]
	v_fma_f64 v[148:149], v[106:107], v[72:73], v[134:135]
	ds_read_b128 v[104:107], v255 offset:14976
	v_fma_f64 v[156:157], v[116:117], v[52:53], -v[140:141]
	v_fma_f64 v[158:159], v[118:119], v[52:53], v[142:143]
	v_fma_f64 v[132:133], v[112:113], v[64:65], -v[136:137]
	v_fma_f64 v[134:135], v[114:115], v[64:65], v[138:139]
	ds_read_b128 v[112:115], v255 offset:17472
	v_fma_f64 v[160:161], v[124:125], v[48:49], -v[150:151]
	v_fma_f64 v[162:163], v[126:127], v[48:49], v[152:153]
	s_waitcnt vmcnt(4)
	v_mul_f64 v[136:137], v[130:131], v[58:59]
	v_mul_f64 v[138:139], v[128:129], v[58:59]
	s_waitcnt vmcnt(3) lgkmcnt(1)
	v_mul_f64 v[116:117], v[106:107], v[62:63]
	v_mul_f64 v[118:119], v[104:105], v[62:63]
	v_add_f64 v[189:190], v[120:121], v[146:147]
	v_add_f64 v[191:192], v[122:123], v[148:149]
	v_fma_f64 v[165:166], v[128:129], v[56:57], -v[136:137]
	v_fma_f64 v[167:168], v[130:131], v[56:57], v[138:139]
	v_fma_f64 v[169:170], v[104:105], v[60:61], -v[116:117]
	v_fma_f64 v[171:172], v[106:107], v[60:61], v[118:119]
	s_waitcnt vmcnt(2) lgkmcnt(0)
	v_mul_f64 v[104:105], v[114:115], v[70:71]
	v_mul_f64 v[106:107], v[112:113], v[70:71]
	v_add_f64 v[231:232], v[165:166], v[169:170]
	v_add_f64 v[237:238], v[167:168], v[171:172]
	v_fma_f64 v[173:174], v[112:113], v[68:69], -v[104:105]
	v_fma_f64 v[175:176], v[114:115], v[68:69], v[106:107]
	global_load_dwordx4 v[104:107], v[144:145], off offset:16
	ds_read_b128 v[112:115], v255 offset:19968
	ds_read_b128 v[116:119], v255 offset:22464
	s_waitcnt vmcnt(2) lgkmcnt(1)
	v_mul_f64 v[124:125], v[114:115], v[78:79]
	v_add_f64 v[219:220], v[160:161], v[173:174]
	v_add_f64 v[225:226], v[162:163], v[175:176]
	v_fma_f64 v[177:178], v[112:113], v[76:77], -v[124:125]
	v_mul_f64 v[112:113], v[112:113], v[78:79]
	v_add_f64 v[213:214], v[156:157], -v[177:178]
	v_fma_f64 v[179:180], v[114:115], v[76:77], v[112:113]
	s_waitcnt vmcnt(1) lgkmcnt(0)
	v_mul_f64 v[112:113], v[118:119], v[102:103]
	v_mul_f64 v[215:216], v[213:214], s[18:19]
	v_fma_f64 v[181:182], v[116:117], v[100:101], -v[112:113]
	v_mul_f64 v[112:113], v[116:117], v[102:103]
	v_fma_f64 v[183:184], v[118:119], v[100:101], v[112:113]
	ds_read_b128 v[112:115], v255 offset:24960
	s_waitcnt vmcnt(0) lgkmcnt(0)
	v_mul_f64 v[116:117], v[112:113], v[106:107]
	v_fma_f64 v[185:186], v[114:115], v[104:105], v[116:117]
	v_mul_f64 v[114:115], v[114:115], v[106:107]
	v_add_f64 v[142:143], v[148:149], v[185:186]
	v_fma_f64 v[187:188], v[112:113], v[104:105], -v[114:115]
	v_add_f64 v[112:113], v[148:149], -v[185:186]
	v_add_f64 v[126:127], v[146:147], v[187:188]
	v_mul_f64 v[114:115], v[112:113], s[26:27]
	v_mul_f64 v[116:117], v[112:113], s[20:21]
	;; [unrolled: 1-line block ×5, first 2 shown]
	v_fma_f64 v[128:129], v[126:127], s[10:11], -v[114:115]
	v_fma_f64 v[114:115], v[126:127], s[10:11], v[114:115]
	v_fma_f64 v[130:131], v[126:127], s[8:9], -v[116:117]
	v_fma_f64 v[116:117], v[126:127], s[8:9], v[116:117]
	;; [unrolled: 2-line block ×3, first 2 shown]
	v_add_f64 v[112:113], v[146:147], -v[187:188]
	v_fma_f64 v[136:137], v[126:127], s[2:3], -v[118:119]
	v_fma_f64 v[138:139], v[126:127], s[2:3], v[118:119]
	v_fma_f64 v[144:145], v[126:127], s[16:17], -v[124:125]
	v_fma_f64 v[150:151], v[126:127], s[16:17], v[124:125]
	v_add_f64 v[209:210], v[120:121], v[128:129]
	v_add_f64 v[114:115], v[120:121], v[114:115]
	;; [unrolled: 1-line block ×3, first 2 shown]
	v_mul_f64 v[126:127], v[112:113], s[18:19]
	v_mul_f64 v[118:119], v[112:113], s[26:27]
	;; [unrolled: 1-line block ×5, first 2 shown]
	v_add_f64 v[146:147], v[120:121], v[144:145]
	v_fma_f64 v[197:198], v[142:143], s[2:3], v[126:127]
	v_fma_f64 v[193:194], v[142:143], s[10:11], v[118:119]
	v_fma_f64 v[118:119], v[142:143], s[10:11], -v[118:119]
	v_fma_f64 v[201:202], v[142:143], s[16:17], v[140:141]
	v_fma_f64 v[203:204], v[142:143], s[16:17], -v[140:141]
	v_fma_f64 v[207:208], v[142:143], s[24:25], -v[112:113]
	v_fma_f64 v[195:196], v[142:143], s[8:9], v[124:125]
	v_fma_f64 v[124:125], v[142:143], s[8:9], -v[124:125]
	v_fma_f64 v[199:200], v[142:143], s[2:3], -v[126:127]
	v_add_f64 v[126:127], v[120:121], v[138:139]
	v_add_f64 v[138:139], v[120:121], v[150:151]
	;; [unrolled: 1-line block ×4, first 2 shown]
	v_fma_f64 v[205:206], v[142:143], s[24:25], v[112:113]
	v_add_f64 v[142:143], v[120:121], v[136:137]
	v_add_f64 v[140:141], v[122:123], v[197:198]
	v_add_f64 v[197:198], v[134:135], -v[183:184]
	v_add_f64 v[211:212], v[122:123], v[193:194]
	v_add_f64 v[193:194], v[132:133], v[181:182]
	;; [unrolled: 1-line block ×7, first 2 shown]
	v_add_f64 v[199:200], v[132:133], -v[181:182]
	v_add_f64 v[128:129], v[122:123], v[195:196]
	v_add_f64 v[195:196], v[134:135], v[183:184]
	;; [unrolled: 1-line block ×5, first 2 shown]
	v_add_f64 v[205:206], v[158:159], -v[179:180]
	v_add_f64 v[201:202], v[156:157], v[177:178]
	v_add_f64 v[132:133], v[189:190], v[132:133]
	;; [unrolled: 1-line block ×3, first 2 shown]
	v_mul_f64 v[207:208], v[197:198], s[20:21]
	v_add_f64 v[132:133], v[132:133], v[156:157]
	v_add_f64 v[134:135], v[134:135], v[158:159]
	v_fma_f64 v[120:121], v[193:194], s[8:9], -v[207:208]
	v_fma_f64 v[207:208], v[193:194], s[8:9], v[207:208]
	v_add_f64 v[132:133], v[132:133], v[160:161]
	v_add_f64 v[134:135], v[134:135], v[162:163]
	;; [unrolled: 1-line block ×3, first 2 shown]
	v_mul_f64 v[209:210], v[199:200], s[20:21]
	v_add_f64 v[114:115], v[207:208], v[114:115]
	s_mov_b32 s21, 0x3fed1bb4
	v_add_f64 v[132:133], v[132:133], v[165:166]
	v_add_f64 v[134:135], v[134:135], v[167:168]
	v_fma_f64 v[122:123], v[195:196], s[8:9], v[209:210]
	v_fma_f64 v[207:208], v[195:196], s[8:9], -v[209:210]
	v_add_f64 v[132:133], v[132:133], v[169:170]
	v_add_f64 v[134:135], v[134:135], v[171:172]
	;; [unrolled: 1-line block ×3, first 2 shown]
	v_mul_f64 v[211:212], v[205:206], s[18:19]
	v_add_f64 v[112:113], v[207:208], v[112:113]
	v_add_f64 v[132:133], v[132:133], v[173:174]
	;; [unrolled: 1-line block ×3, first 2 shown]
	v_fma_f64 v[203:204], v[201:202], s[2:3], -v[211:212]
	v_fma_f64 v[207:208], v[201:202], s[2:3], v[211:212]
	v_add_f64 v[132:133], v[132:133], v[177:178]
	v_add_f64 v[134:135], v[134:135], v[179:180]
	;; [unrolled: 1-line block ×7, first 2 shown]
	v_fma_f64 v[217:218], v[203:204], s[2:3], v[215:216]
	v_fma_f64 v[207:208], v[203:204], s[2:3], -v[215:216]
	v_add_f64 v[132:133], v[132:133], v[187:188]
	v_add_f64 v[134:135], v[134:135], v[185:186]
	;; [unrolled: 1-line block ×3, first 2 shown]
	v_add_f64 v[217:218], v[162:163], -v[175:176]
	v_add_f64 v[112:113], v[207:208], v[112:113]
	v_mul_f64 v[221:222], v[217:218], s[22:23]
	v_fma_f64 v[223:224], v[219:220], s[16:17], -v[221:222]
	v_fma_f64 v[207:208], v[219:220], s[16:17], v[221:222]
	v_add_f64 v[120:121], v[223:224], v[120:121]
	v_add_f64 v[223:224], v[160:161], -v[173:174]
	v_add_f64 v[114:115], v[207:208], v[114:115]
	v_mul_f64 v[227:228], v[223:224], s[22:23]
	v_fma_f64 v[229:230], v[225:226], s[16:17], v[227:228]
	v_fma_f64 v[207:208], v[225:226], s[16:17], -v[227:228]
	v_add_f64 v[122:123], v[229:230], v[122:123]
	v_add_f64 v[229:230], v[167:168], -v[171:172]
	v_add_f64 v[207:208], v[207:208], v[112:113]
	v_mul_f64 v[233:234], v[229:230], s[28:29]
	v_fma_f64 v[235:236], v[231:232], s[24:25], -v[233:234]
	v_fma_f64 v[112:113], v[231:232], s[24:25], v[233:234]
	v_add_f64 v[120:121], v[235:236], v[120:121]
	v_add_f64 v[235:236], v[165:166], -v[169:170]
	v_add_f64 v[112:113], v[112:113], v[114:115]
	v_mul_f64 v[239:240], v[235:236], s[28:29]
	v_fma_f64 v[209:210], v[237:238], s[24:25], -v[239:240]
	v_fma_f64 v[241:242], v[237:238], s[24:25], v[239:240]
	v_mul_f64 v[239:240], v[229:230], s[30:31]
	v_add_f64 v[114:115], v[209:210], v[207:208]
	v_mul_f64 v[207:208], v[197:198], s[22:23]
	v_add_f64 v[122:123], v[241:242], v[122:123]
	v_mul_f64 v[241:242], v[235:236], s[30:31]
	v_fma_f64 v[209:210], v[193:194], s[16:17], -v[207:208]
	v_fma_f64 v[207:208], v[193:194], s[16:17], v[207:208]
	v_add_f64 v[130:131], v[209:210], v[130:131]
	v_mul_f64 v[209:210], v[199:200], s[22:23]
	v_add_f64 v[118:119], v[207:208], v[118:119]
	v_fma_f64 v[211:212], v[195:196], s[16:17], v[209:210]
	v_fma_f64 v[207:208], v[195:196], s[16:17], -v[209:210]
	v_fma_f64 v[209:210], v[237:238], s[10:11], -v[241:242]
	v_add_f64 v[128:129], v[211:212], v[128:129]
	v_mul_f64 v[211:212], v[205:206], s[36:37]
	v_add_f64 v[116:117], v[207:208], v[116:117]
	v_fma_f64 v[215:216], v[201:202], s[24:25], -v[211:212]
	v_fma_f64 v[207:208], v[201:202], s[24:25], v[211:212]
	v_add_f64 v[130:131], v[215:216], v[130:131]
	v_mul_f64 v[215:216], v[213:214], s[36:37]
	v_add_f64 v[118:119], v[207:208], v[118:119]
	v_fma_f64 v[221:222], v[203:204], s[24:25], v[215:216]
	v_fma_f64 v[207:208], v[203:204], s[24:25], -v[215:216]
	v_add_f64 v[128:129], v[221:222], v[128:129]
	v_mul_f64 v[221:222], v[217:218], s[34:35]
	v_add_f64 v[116:117], v[207:208], v[116:117]
	v_fma_f64 v[227:228], v[219:220], s[2:3], -v[221:222]
	v_fma_f64 v[207:208], v[219:220], s[2:3], v[221:222]
	v_add_f64 v[130:131], v[227:228], v[130:131]
	v_mul_f64 v[227:228], v[223:224], s[34:35]
	v_add_f64 v[118:119], v[207:208], v[118:119]
	v_fma_f64 v[207:208], v[225:226], s[2:3], -v[227:228]
	v_fma_f64 v[233:234], v[225:226], s[2:3], v[227:228]
	v_add_f64 v[207:208], v[207:208], v[116:117]
	v_fma_f64 v[116:117], v[231:232], s[10:11], v[239:240]
	v_add_f64 v[233:234], v[233:234], v[128:129]
	v_fma_f64 v[128:129], v[231:232], s[10:11], -v[239:240]
	v_mul_f64 v[239:240], v[229:230], s[22:23]
	v_add_f64 v[116:117], v[116:117], v[118:119]
	v_add_f64 v[118:119], v[209:210], v[207:208]
	v_mul_f64 v[207:208], v[197:198], s[36:37]
	v_add_f64 v[128:129], v[128:129], v[130:131]
	v_fma_f64 v[130:131], v[237:238], s[10:11], v[241:242]
	v_mul_f64 v[241:242], v[235:236], s[22:23]
	v_fma_f64 v[209:210], v[193:194], s[24:25], -v[207:208]
	v_fma_f64 v[207:208], v[193:194], s[24:25], v[207:208]
	v_add_f64 v[130:131], v[130:131], v[233:234]
	v_add_f64 v[142:143], v[209:210], v[142:143]
	v_mul_f64 v[209:210], v[199:200], s[36:37]
	v_add_f64 v[126:127], v[207:208], v[126:127]
	v_fma_f64 v[211:212], v[195:196], s[24:25], v[209:210]
	v_fma_f64 v[207:208], v[195:196], s[24:25], -v[209:210]
	v_fma_f64 v[209:210], v[237:238], s[16:17], -v[241:242]
	v_add_f64 v[140:141], v[211:212], v[140:141]
	v_mul_f64 v[211:212], v[205:206], s[20:21]
	v_add_f64 v[124:125], v[207:208], v[124:125]
	v_fma_f64 v[215:216], v[201:202], s[8:9], -v[211:212]
	v_fma_f64 v[207:208], v[201:202], s[8:9], v[211:212]
	v_add_f64 v[142:143], v[215:216], v[142:143]
	v_mul_f64 v[215:216], v[213:214], s[20:21]
	v_add_f64 v[126:127], v[207:208], v[126:127]
	v_fma_f64 v[221:222], v[203:204], s[8:9], v[215:216]
	v_fma_f64 v[207:208], v[203:204], s[8:9], -v[215:216]
	v_add_f64 v[140:141], v[221:222], v[140:141]
	v_mul_f64 v[221:222], v[217:218], s[26:27]
	v_add_f64 v[124:125], v[207:208], v[124:125]
	v_fma_f64 v[227:228], v[219:220], s[10:11], -v[221:222]
	v_fma_f64 v[207:208], v[219:220], s[10:11], v[221:222]
	v_add_f64 v[142:143], v[227:228], v[142:143]
	v_mul_f64 v[227:228], v[223:224], s[26:27]
	v_add_f64 v[126:127], v[207:208], v[126:127]
	v_fma_f64 v[207:208], v[225:226], s[10:11], -v[227:228]
	v_fma_f64 v[233:234], v[225:226], s[10:11], v[227:228]
	v_add_f64 v[207:208], v[207:208], v[124:125]
	v_fma_f64 v[124:125], v[231:232], s[16:17], v[239:240]
	v_add_f64 v[233:234], v[233:234], v[140:141]
	v_fma_f64 v[140:141], v[231:232], s[16:17], -v[239:240]
	v_mul_f64 v[239:240], v[229:230], s[20:21]
	v_add_f64 v[124:125], v[124:125], v[126:127]
	v_add_f64 v[126:127], v[209:210], v[207:208]
	v_mul_f64 v[207:208], v[197:198], s[34:35]
	v_add_f64 v[140:141], v[140:141], v[142:143]
	v_fma_f64 v[142:143], v[237:238], s[16:17], v[241:242]
	v_mul_f64 v[241:242], v[235:236], s[20:21]
	v_mul_f64 v[197:198], v[197:198], s[30:31]
	v_fma_f64 v[209:210], v[193:194], s[2:3], -v[207:208]
	v_fma_f64 v[207:208], v[193:194], s[2:3], v[207:208]
	v_add_f64 v[142:143], v[142:143], v[233:234]
	v_add_f64 v[146:147], v[209:210], v[146:147]
	v_mul_f64 v[209:210], v[199:200], s[34:35]
	v_add_f64 v[138:139], v[207:208], v[138:139]
	v_mul_f64 v[199:200], v[199:200], s[30:31]
	v_fma_f64 v[211:212], v[195:196], s[2:3], v[209:210]
	v_fma_f64 v[207:208], v[195:196], s[2:3], -v[209:210]
	v_fma_f64 v[209:210], v[237:238], s[8:9], -v[241:242]
	v_add_f64 v[144:145], v[211:212], v[144:145]
	v_mul_f64 v[211:212], v[205:206], s[26:27]
	v_add_f64 v[136:137], v[207:208], v[136:137]
	v_mul_f64 v[205:206], v[205:206], s[22:23]
	v_fma_f64 v[215:216], v[201:202], s[10:11], -v[211:212]
	v_fma_f64 v[207:208], v[201:202], s[10:11], v[211:212]
	v_add_f64 v[146:147], v[215:216], v[146:147]
	v_mul_f64 v[215:216], v[213:214], s[26:27]
	v_add_f64 v[138:139], v[207:208], v[138:139]
	v_fma_f64 v[221:222], v[203:204], s[10:11], v[215:216]
	v_fma_f64 v[207:208], v[203:204], s[10:11], -v[215:216]
	v_mul_f64 v[215:216], v[229:230], s[18:19]
	v_add_f64 v[144:145], v[221:222], v[144:145]
	v_mul_f64 v[221:222], v[217:218], s[28:29]
	v_add_f64 v[136:137], v[207:208], v[136:137]
	v_fma_f64 v[227:228], v[219:220], s[24:25], -v[221:222]
	v_fma_f64 v[207:208], v[219:220], s[24:25], v[221:222]
	v_add_f64 v[146:147], v[227:228], v[146:147]
	v_mul_f64 v[227:228], v[223:224], s[28:29]
	v_add_f64 v[138:139], v[207:208], v[138:139]
	v_fma_f64 v[207:208], v[225:226], s[24:25], -v[227:228]
	v_fma_f64 v[233:234], v[225:226], s[24:25], v[227:228]
	v_add_f64 v[207:208], v[207:208], v[136:137]
	v_fma_f64 v[136:137], v[231:232], s[8:9], v[239:240]
	v_add_f64 v[233:234], v[233:234], v[144:145]
	v_fma_f64 v[144:145], v[231:232], s[8:9], -v[239:240]
	v_add_f64 v[136:137], v[136:137], v[138:139]
	v_add_f64 v[138:139], v[209:210], v[207:208]
	v_fma_f64 v[207:208], v[193:194], s[10:11], -v[197:198]
	v_fma_f64 v[193:194], v[193:194], s[10:11], v[197:198]
	v_fma_f64 v[197:198], v[201:202], s[16:17], v[205:206]
	v_add_f64 v[144:145], v[144:145], v[146:147]
	v_fma_f64 v[146:147], v[237:238], s[8:9], v[241:242]
	v_add_f64 v[150:151], v[207:208], v[150:151]
	v_fma_f64 v[207:208], v[195:196], s[10:11], v[199:200]
	v_fma_f64 v[195:196], v[195:196], s[10:11], -v[199:200]
	v_add_f64 v[152:153], v[193:194], v[152:153]
	v_add_f64 v[146:147], v[146:147], v[233:234]
	;; [unrolled: 1-line block ×3, first 2 shown]
	v_fma_f64 v[207:208], v[201:202], s[16:17], -v[205:206]
	v_add_f64 v[154:155], v[195:196], v[154:155]
	v_add_f64 v[152:153], v[197:198], v[152:153]
	v_fma_f64 v[197:198], v[231:232], s[2:3], v[215:216]
	v_add_f64 v[150:151], v[207:208], v[150:151]
	v_mul_f64 v[207:208], v[213:214], s[22:23]
	v_fma_f64 v[209:210], v[203:204], s[16:17], v[207:208]
	v_fma_f64 v[199:200], v[203:204], s[16:17], -v[207:208]
	v_add_f64 v[148:149], v[209:210], v[148:149]
	v_mul_f64 v[209:210], v[217:218], s[20:21]
	v_mul_f64 v[217:218], v[235:236], s[18:19]
	v_add_f64 v[154:155], v[199:200], v[154:155]
	v_fma_f64 v[211:212], v[219:220], s[8:9], -v[209:210]
	v_fma_f64 v[193:194], v[219:220], s[8:9], v[209:210]
	v_fma_f64 v[199:200], v[237:238], s[2:3], -v[217:218]
	v_add_f64 v[150:151], v[211:212], v[150:151]
	v_mul_f64 v[211:212], v[223:224], s[20:21]
	v_add_f64 v[152:153], v[193:194], v[152:153]
	v_fma_f64 v[213:214], v[225:226], s[8:9], v[211:212]
	v_fma_f64 v[195:196], v[225:226], s[8:9], -v[211:212]
	v_add_f64 v[152:153], v[197:198], v[152:153]
	v_add_f64 v[213:214], v[213:214], v[148:149]
	v_fma_f64 v[148:149], v[231:232], s[2:3], -v[215:216]
	v_add_f64 v[154:155], v[195:196], v[154:155]
	v_add_f64 v[148:149], v[148:149], v[150:151]
	v_fma_f64 v[150:151], v[237:238], s[2:3], v[217:218]
	v_add_f64 v[154:155], v[199:200], v[154:155]
	v_add_f64 v[150:151], v[150:151], v[213:214]
	ds_write_b128 v255, v[120:123] offset:2496
	ds_write_b128 v255, v[128:131] offset:4992
	;; [unrolled: 1-line block ×10, first 2 shown]
	ds_write_b128 v255, v[132:135]
	s_waitcnt lgkmcnt(0)
	s_barrier
	buffer_gl0_inv
	s_and_saveexec_b32 s3, vcc_lo
	s_cbranch_execz .LBB0_17
; %bb.16:
	v_add_co_u32 v160, s2, s14, v255
	v_add_co_ci_u32_e64 v161, null, s15, 0, s2
	v_add_co_u32 v156, s2, 0x6800, v160
	v_add_co_ci_u32_e64 v157, s2, 0, v161, s2
	v_add_co_u32 v162, s2, 0x7000, v160
	v_add_co_ci_u32_e64 v163, s2, 0, v161, s2
	s_clause 0x1
	global_load_dwordx4 v[156:159], v[156:157], off offset:832
	global_load_dwordx4 v[165:168], v[162:163], off offset:896
	v_add_co_u32 v162, s2, 0x7800, v160
	v_add_co_ci_u32_e64 v163, s2, 0, v161, s2
	global_load_dwordx4 v[169:172], v[162:163], off offset:960
	v_add_co_u32 v162, s2, 0x8000, v160
	v_add_co_ci_u32_e64 v163, s2, 0, v161, s2
	;; [unrolled: 3-line block ×4, first 2 shown]
	v_add_co_u32 v185, s2, 0x9800, v160
	v_add_co_ci_u32_e64 v186, s2, 0, v161, s2
	s_clause 0x1
	global_load_dwordx4 v[181:184], v[162:163], off offset:1152
	global_load_dwordx4 v[185:188], v[185:186], off offset:1216
	v_add_co_u32 v162, s2, 0xa000, v160
	v_add_co_ci_u32_e64 v163, s2, 0, v161, s2
	global_load_dwordx4 v[189:192], v[162:163], off offset:1280
	v_add_co_u32 v162, s2, 0xa800, v160
	v_add_co_ci_u32_e64 v163, s2, 0, v161, s2
	v_add_co_u32 v197, s2, 0xb000, v160
	v_add_co_ci_u32_e64 v198, s2, 0, v161, s2
	s_clause 0x1
	global_load_dwordx4 v[193:196], v[162:163], off offset:1344
	global_load_dwordx4 v[197:200], v[197:198], off offset:1408
	v_add_co_u32 v162, s2, 0xb800, v160
	v_add_co_ci_u32_e64 v163, s2, 0, v161, s2
	global_load_dwordx4 v[201:204], v[162:163], off offset:1472
	v_add_co_u32 v162, s2, 0xc000, v160
	v_add_co_ci_u32_e64 v163, s2, 0, v161, s2
	v_add_co_u32 v205, s2, 0xc800, v160
	v_add_co_ci_u32_e64 v206, s2, 0, v161, s2
	s_clause 0x1
	global_load_dwordx4 v[160:163], v[162:163], off offset:1536
	global_load_dwordx4 v[205:208], v[205:206], off offset:1600
	ds_read_b128 v[209:212], v255
	ds_read_b128 v[213:216], v255 offset:2112
	ds_read_b128 v[217:220], v255 offset:4224
	s_waitcnt vmcnt(12) lgkmcnt(2)
	v_mul_f64 v[221:222], v[211:212], v[158:159]
	v_mul_f64 v[158:159], v[209:210], v[158:159]
	s_waitcnt vmcnt(11) lgkmcnt(1)
	v_mul_f64 v[223:224], v[215:216], v[167:168]
	v_mul_f64 v[167:168], v[213:214], v[167:168]
	v_fma_f64 v[209:210], v[209:210], v[156:157], -v[221:222]
	v_fma_f64 v[211:212], v[211:212], v[156:157], v[158:159]
	ds_read_b128 v[156:159], v255 offset:6336
	s_waitcnt vmcnt(10) lgkmcnt(1)
	v_mul_f64 v[221:222], v[219:220], v[171:172]
	v_mul_f64 v[171:172], v[217:218], v[171:172]
	v_fma_f64 v[213:214], v[213:214], v[165:166], -v[223:224]
	v_fma_f64 v[215:216], v[215:216], v[165:166], v[167:168]
	ds_read_b128 v[165:168], v255 offset:8448
	;; [unrolled: 6-line block ×10, first 2 shown]
	s_waitcnt vmcnt(1) lgkmcnt(1)
	v_mul_f64 v[223:224], v[195:196], v[162:163]
	v_mul_f64 v[162:163], v[193:194], v[162:163]
	v_fma_f64 v[189:190], v[189:190], v[201:202], -v[221:222]
	v_fma_f64 v[191:192], v[191:192], v[201:202], v[203:204]
	s_waitcnt vmcnt(0) lgkmcnt(0)
	v_mul_f64 v[201:202], v[199:200], v[207:208]
	v_mul_f64 v[203:204], v[197:198], v[207:208]
	v_fma_f64 v[193:194], v[193:194], v[160:161], -v[223:224]
	v_fma_f64 v[195:196], v[195:196], v[160:161], v[162:163]
	v_fma_f64 v[160:161], v[197:198], v[205:206], -v[201:202]
	v_fma_f64 v[162:163], v[199:200], v[205:206], v[203:204]
	ds_write_b128 v255, v[209:212]
	ds_write_b128 v255, v[213:216] offset:2112
	ds_write_b128 v255, v[217:220] offset:4224
	ds_write_b128 v255, v[156:159] offset:6336
	ds_write_b128 v255, v[165:168] offset:8448
	ds_write_b128 v255, v[169:172] offset:10560
	ds_write_b128 v255, v[173:176] offset:12672
	ds_write_b128 v255, v[177:180] offset:14784
	ds_write_b128 v255, v[181:184] offset:16896
	ds_write_b128 v255, v[185:188] offset:19008
	ds_write_b128 v255, v[189:192] offset:21120
	ds_write_b128 v255, v[193:196] offset:23232
	ds_write_b128 v255, v[160:163] offset:25344
.LBB0_17:
	s_or_b32 exec_lo, exec_lo, s3
	s_waitcnt lgkmcnt(0)
	s_barrier
	buffer_gl0_inv
	s_and_saveexec_b32 s2, vcc_lo
	s_cbranch_execz .LBB0_19
; %bb.18:
	ds_read_b128 v[132:135], v255
	ds_read_b128 v[120:123], v255 offset:2112
	ds_read_b128 v[128:131], v255 offset:4224
	;; [unrolled: 1-line block ×12, first 2 shown]
.LBB0_19:
	s_or_b32 exec_lo, exec_lo, s2
	s_waitcnt lgkmcnt(0)
	v_add_f64 v[183:184], v[122:123], -v[2:3]
	s_mov_b32 s10, 0x42a4c3d2
	s_mov_b32 s11, 0xbfea55e2
	v_add_f64 v[181:182], v[120:121], v[0:1]
	v_add_f64 v[167:168], v[130:131], -v[110:111]
	v_add_f64 v[225:226], v[122:123], v[2:3]
	s_mov_b32 s2, 0x1ea71119
	s_mov_b32 s8, 0x2ef20147
	;; [unrolled: 1-line block ×4, first 2 shown]
	v_add_f64 v[165:166], v[128:129], v[108:109]
	v_add_f64 v[227:228], v[120:121], -v[0:1]
	v_add_f64 v[171:172], v[130:131], v[110:111]
	s_mov_b32 s16, 0xb2365da1
	s_mov_b32 s17, 0xbfd6b1d8
	v_add_f64 v[179:180], v[128:129], -v[108:109]
	v_add_f64 v[177:178], v[142:143], -v[114:115]
	s_mov_b32 s22, 0x4bc48dbf
	s_mov_b32 s23, 0xbfcea1e5
	v_add_f64 v[169:170], v[140:141], v[112:113]
	v_add_f64 v[175:176], v[142:143], v[114:115]
	s_mov_b32 s18, 0x93053d00
	v_mul_f64 v[4:5], v[183:184], s[10:11]
	s_mov_b32 s19, 0xbfef11f4
	v_add_f64 v[201:202], v[140:141], -v[112:113]
	v_add_f64 v[193:194], v[146:147], -v[118:119]
	v_mul_f64 v[6:7], v[167:168], s[8:9]
	v_mul_f64 v[249:250], v[225:226], s[2:3]
	s_mov_b32 s28, 0x24c2f84
	s_mov_b32 s29, 0x3fe5384d
	v_add_f64 v[173:174], v[144:145], v[116:117]
	v_add_f64 v[189:190], v[146:147], v[118:119]
	s_mov_b32 s20, 0xd0032e0c
	s_mov_b32 s21, 0xbfe7f3cc
	v_mul_f64 v[16:17], v[171:172], s[16:17]
	v_add_f64 v[203:204], v[144:145], -v[116:117]
	v_add_f64 v[207:208], v[150:151], -v[126:127]
	s_mov_b32 s34, 0x66966769
	v_mul_f64 v[20:21], v[177:178], s[22:23]
	s_mov_b32 s35, 0xbfefc445
	s_mov_b32 s31, 0x3fefc445
	;; [unrolled: 1-line block ×3, first 2 shown]
	v_mul_f64 v[14:15], v[175:176], s[18:19]
	v_add_f64 v[187:188], v[148:149], v[124:125]
	v_fma_f64 v[156:157], v[181:182], s[2:3], -v[4:5]
	v_add_f64 v[195:196], v[150:151], v[126:127]
	s_mov_b32 s24, 0xebaa3ed8
	v_mul_f64 v[18:19], v[193:194], s[28:29]
	v_fma_f64 v[158:159], v[165:166], s[16:17], -v[6:7]
	v_fma_f64 v[160:161], v[227:228], s[10:11], v[249:250]
	s_mov_b32 s25, 0x3fbedb7d
	v_add_f64 v[211:212], v[148:149], -v[124:125]
	v_add_f64 v[191:192], v[154:155], -v[138:139]
	v_mul_f64 v[223:224], v[189:190], s[20:21]
	s_mov_b32 s41, 0x3fddbe06
	s_mov_b32 s40, 0x4267c47c
	v_add_f64 v[185:186], v[152:153], v[136:137]
	v_add_f64 v[197:198], v[154:155], v[138:139]
	v_mul_f64 v[221:222], v[207:208], s[30:31]
	s_mov_b32 s26, 0xe00740e9
	s_mov_b32 s27, 0x3fec55a7
	v_add_f64 v[199:200], v[152:153], -v[136:137]
	v_mul_f64 v[209:210], v[183:184], s[34:35]
	v_mul_f64 v[233:234], v[167:168], s[22:23]
	;; [unrolled: 1-line block ×4, first 2 shown]
	v_add_f64 v[156:157], v[132:133], v[156:157]
	v_mul_f64 v[231:232], v[195:196], s[24:25]
	s_mov_b32 s39, 0x3fedeba7
	s_mov_b32 s38, s8
	v_mul_f64 v[247:248], v[175:176], s[16:17]
	v_mul_f64 v[235:236], v[177:178], s[38:39]
	;; [unrolled: 1-line block ×7, first 2 shown]
	s_mov_b32 s37, 0xbfe5384d
	s_mov_b32 s36, s28
	v_mul_f64 v[237:238], v[197:198], s[26:27]
	v_mul_f64 v[245:246], v[191:192], s[36:37]
	s_barrier
	buffer_gl0_inv
	v_fma_f64 v[205:206], v[179:180], s[22:23], v[239:240]
	v_add_f64 v[156:157], v[158:159], v[156:157]
	v_add_f64 v[158:159], v[134:135], v[160:161]
	v_fma_f64 v[160:161], v[179:180], s[8:9], v[16:17]
	v_add_f64 v[158:159], v[160:161], v[158:159]
	v_fma_f64 v[160:161], v[169:170], s[18:19], -v[20:21]
	v_add_f64 v[156:157], v[160:161], v[156:157]
	v_fma_f64 v[160:161], v[201:202], s[22:23], v[14:15]
	v_add_f64 v[158:159], v[160:161], v[158:159]
	v_fma_f64 v[160:161], v[173:174], s[20:21], -v[18:19]
	;; [unrolled: 4-line block ×5, first 2 shown]
	v_fma_f64 v[158:159], v[165:166], s[18:19], -v[233:234]
	v_add_f64 v[156:157], v[132:133], v[156:157]
	v_add_f64 v[156:157], v[158:159], v[156:157]
	v_fma_f64 v[158:159], v[227:228], s[34:35], v[213:214]
	v_add_f64 v[158:159], v[134:135], v[158:159]
	v_add_f64 v[158:159], v[205:206], v[158:159]
	v_fma_f64 v[205:206], v[169:170], s[16:17], -v[235:236]
	v_add_f64 v[156:157], v[205:206], v[156:157]
	v_fma_f64 v[205:206], v[201:202], s[38:39], v[247:248]
	v_add_f64 v[158:159], v[205:206], v[158:159]
	v_fma_f64 v[205:206], v[173:174], s[26:27], -v[241:242]
	v_add_f64 v[156:157], v[205:206], v[156:157]
	v_fma_f64 v[205:206], v[203:204], s[40:41], v[251:252]
	;; [unrolled: 4-line block ×3, first 2 shown]
	v_add_f64 v[158:159], v[205:206], v[158:159]
	v_fma_f64 v[205:206], v[185:186], s[20:21], -v[245:246]
	v_add_f64 v[156:157], v[205:206], v[156:157]
	v_mul_f64 v[205:206], v[197:198], s[20:21]
	v_fma_f64 v[215:216], v[199:200], s[36:37], v[205:206]
	v_add_f64 v[158:159], v[215:216], v[158:159]
	s_and_saveexec_b32 s33, vcc_lo
	s_cbranch_execz .LBB0_21
; %bb.20:
	v_add_f64 v[120:121], v[132:133], v[120:121]
	v_add_f64 v[122:123], v[134:135], v[122:123]
	v_mov_b32_e32 v13, v7
	v_mov_b32_e32 v12, v6
	v_mul_f64 v[6:7], v[199:200], s[30:31]
	v_mul_f64 v[8:9], v[191:192], s[30:31]
	v_add_f64 v[120:121], v[120:121], v[128:129]
	v_add_f64 v[122:123], v[122:123], v[130:131]
	v_mul_f64 v[128:129], v[211:212], s[40:41]
	v_mul_f64 v[130:131], v[201:202], s[40:41]
	v_fma_f64 v[10:11], v[185:186], s[24:25], -v[8:9]
	v_fma_f64 v[8:9], v[185:186], s[24:25], v[8:9]
	v_add_f64 v[120:121], v[120:121], v[140:141]
	v_add_f64 v[122:123], v[122:123], v[142:143]
	v_mul_f64 v[140:141], v[227:228], s[8:9]
	v_add_f64 v[120:121], v[120:121], v[144:145]
	v_add_f64 v[122:123], v[122:123], v[146:147]
	;; [unrolled: 1-line block ×4, first 2 shown]
	v_fma_f64 v[148:149], v[225:226], s[16:17], v[140:141]
	v_fma_f64 v[140:141], v[225:226], s[16:17], -v[140:141]
	v_add_f64 v[120:121], v[120:121], v[152:153]
	v_add_f64 v[122:123], v[122:123], v[154:155]
	v_mul_f64 v[152:153], v[183:184], s[22:23]
	v_mul_f64 v[154:155], v[183:184], s[36:37]
	v_add_f64 v[148:149], v[134:135], v[148:149]
	v_add_f64 v[140:141], v[134:135], v[140:141]
	;; [unrolled: 1-line block ×4, first 2 shown]
	v_mul_f64 v[136:137], v[177:178], s[40:41]
	v_mul_f64 v[138:139], v[207:208], s[40:41]
	v_fma_f64 v[215:216], v[181:182], s[20:21], -v[154:155]
	v_fma_f64 v[154:155], v[181:182], s[20:21], v[154:155]
	v_add_f64 v[120:121], v[120:121], v[124:125]
	v_add_f64 v[122:123], v[122:123], v[126:127]
	v_mul_f64 v[124:125], v[227:228], s[22:23]
	v_mul_f64 v[126:127], v[227:228], s[36:37]
	v_add_f64 v[154:155], v[132:133], v[154:155]
	v_add_f64 v[116:117], v[120:121], v[116:117]
	;; [unrolled: 1-line block ×3, first 2 shown]
	v_mul_f64 v[120:121], v[203:204], s[40:41]
	v_mul_f64 v[122:123], v[199:200], s[40:41]
	v_fma_f64 v[144:145], v[225:226], s[18:19], v[124:125]
	v_fma_f64 v[146:147], v[225:226], s[20:21], v[126:127]
	v_fma_f64 v[126:127], v[225:226], s[20:21], -v[126:127]
	v_fma_f64 v[124:125], v[225:226], s[18:19], -v[124:125]
	v_add_f64 v[112:113], v[116:117], v[112:113]
	v_add_f64 v[114:115], v[118:119], v[114:115]
	v_mul_f64 v[116:117], v[179:180], s[40:41]
	v_mul_f64 v[118:119], v[167:168], s[40:41]
	s_mov_b32 s41, 0xbfddbe06
	v_add_f64 v[144:145], v[134:135], v[144:145]
	v_mul_f64 v[142:143], v[227:228], s[40:41]
	v_add_f64 v[124:125], v[134:135], v[124:125]
	v_add_f64 v[146:147], v[134:135], v[146:147]
	v_add_f64 v[120:121], v[251:252], -v[120:121]
	v_add_f64 v[108:109], v[112:113], v[108:109]
	v_add_f64 v[110:111], v[114:115], v[110:111]
	v_mul_f64 v[112:113], v[181:182], s[2:3]
	v_mul_f64 v[114:115], v[181:182], s[24:25]
	v_fma_f64 v[150:151], v[225:226], s[26:27], -v[142:143]
	v_fma_f64 v[142:143], v[225:226], s[26:27], v[142:143]
	v_add_f64 v[0:1], v[108:109], v[0:1]
	v_mul_f64 v[108:109], v[227:228], s[34:35]
	v_add_f64 v[112:113], v[112:113], v[4:5]
	v_add_f64 v[114:115], v[114:115], v[209:210]
	v_mul_f64 v[209:210], v[183:184], s[8:9]
	v_mul_f64 v[183:184], v[183:184], s[40:41]
	v_add_f64 v[2:3], v[110:111], v[2:3]
	v_mul_f64 v[110:111], v[227:228], s[10:11]
	v_add_f64 v[150:151], v[134:135], v[150:151]
	s_mov_b32 s41, 0x3fea55e2
	s_mov_b32 s40, s10
	v_add_f64 v[108:109], v[213:214], -v[108:109]
	v_fma_f64 v[213:214], v[181:182], s[18:19], -v[152:153]
	v_fma_f64 v[152:153], v[181:182], s[18:19], v[152:153]
	v_fma_f64 v[225:226], v[181:182], s[16:17], -v[209:210]
	v_fma_f64 v[209:210], v[181:182], s[16:17], v[209:210]
	v_fma_f64 v[227:228], v[181:182], s[26:27], v[183:184]
	v_fma_f64 v[181:182], v[181:182], s[26:27], -v[183:184]
	v_add_f64 v[217:218], v[132:133], v[112:113]
	v_mul_f64 v[112:113], v[201:202], s[36:37]
	v_add_f64 v[110:111], v[249:250], -v[110:111]
	v_add_f64 v[219:220], v[132:133], v[114:115]
	v_add_f64 v[183:184], v[132:133], v[213:214]
	;; [unrolled: 1-line block ×5, first 2 shown]
	v_fma_f64 v[108:109], v[171:172], s[26:27], v[116:117]
	v_add_f64 v[152:153], v[132:133], v[152:153]
	v_add_f64 v[225:226], v[132:133], v[225:226]
	v_fma_f64 v[114:115], v[175:176], s[20:21], v[112:113]
	v_add_f64 v[249:250], v[134:135], v[110:111]
	v_fma_f64 v[110:111], v[165:166], s[26:27], -v[118:119]
	v_add_f64 v[134:135], v[134:135], v[142:143]
	v_add_f64 v[209:210], v[132:133], v[209:210]
	;; [unrolled: 1-line block ×4, first 2 shown]
	v_fma_f64 v[112:113], v[175:176], s[20:21], -v[112:113]
	v_add_f64 v[108:109], v[108:109], v[144:145]
	v_add_f64 v[110:111], v[110:111], v[183:184]
	;; [unrolled: 1-line block ×3, first 2 shown]
	v_mul_f64 v[114:115], v[177:178], s[36:37]
	v_fma_f64 v[142:143], v[169:170], s[20:21], -v[114:115]
	v_add_f64 v[110:111], v[142:143], v[110:111]
	v_mul_f64 v[142:143], v[203:204], s[40:41]
	v_fma_f64 v[144:145], v[189:190], s[2:3], v[142:143]
	v_add_f64 v[108:109], v[144:145], v[108:109]
	v_mul_f64 v[144:145], v[193:194], s[40:41]
	v_fma_f64 v[181:182], v[173:174], s[2:3], -v[144:145]
	v_add_f64 v[110:111], v[181:182], v[110:111]
	v_mul_f64 v[181:182], v[211:212], s[8:9]
	v_fma_f64 v[183:184], v[195:196], s[16:17], v[181:182]
	v_add_f64 v[108:109], v[183:184], v[108:109]
	v_mul_f64 v[183:184], v[207:208], s[8:9]
	v_fma_f64 v[4:5], v[187:188], s[16:17], -v[183:184]
	v_add_f64 v[4:5], v[4:5], v[110:111]
	v_fma_f64 v[110:111], v[197:198], s[24:25], v[6:7]
	v_fma_f64 v[6:7], v[197:198], s[24:25], -v[6:7]
	v_add_f64 v[110:111], v[110:111], v[108:109]
	v_add_f64 v[108:109], v[10:11], v[4:5]
	v_fma_f64 v[4:5], v[171:172], s[26:27], -v[116:117]
	v_fma_f64 v[10:11], v[165:166], s[26:27], v[118:119]
	v_mul_f64 v[116:117], v[203:204], s[28:29]
	v_mul_f64 v[118:119], v[173:174], s[20:21]
	v_add_f64 v[4:5], v[4:5], v[124:125]
	v_add_f64 v[10:11], v[10:11], v[152:153]
	v_add_f64 v[116:117], v[223:224], -v[116:117]
	v_mul_f64 v[124:125], v[211:212], s[30:31]
	v_add_f64 v[118:119], v[118:119], v[18:19]
	v_mul_f64 v[152:153], v[193:194], s[8:9]
	v_add_f64 v[4:5], v[112:113], v[4:5]
	v_fma_f64 v[112:113], v[169:170], s[20:21], v[114:115]
	v_add_f64 v[124:125], v[231:232], -v[124:125]
	v_add_f64 v[10:11], v[112:113], v[10:11]
	v_fma_f64 v[112:113], v[189:190], s[2:3], -v[142:143]
	v_mul_f64 v[142:143], v[201:202], s[34:35]
	v_add_f64 v[4:5], v[112:113], v[4:5]
	v_fma_f64 v[112:113], v[173:174], s[2:3], v[144:145]
	v_mul_f64 v[144:145], v[177:178], s[34:35]
	v_add_f64 v[10:11], v[112:113], v[10:11]
	v_fma_f64 v[112:113], v[195:196], s[16:17], -v[181:182]
	v_mul_f64 v[181:182], v[211:212], s[36:37]
	v_add_f64 v[4:5], v[112:113], v[4:5]
	v_fma_f64 v[112:113], v[187:188], s[16:17], v[183:184]
	v_mul_f64 v[183:184], v[207:208], s[36:37]
	v_add_f64 v[114:115], v[6:7], v[4:5]
	v_add_f64 v[10:11], v[112:113], v[10:11]
	v_mul_f64 v[4:5], v[179:180], s[8:9]
	v_mul_f64 v[6:7], v[165:166], s[16:17]
	v_add_f64 v[112:113], v[8:9], v[10:11]
	v_add_f64 v[4:5], v[16:17], -v[4:5]
	v_mul_f64 v[8:9], v[201:202], s[22:23]
	v_add_f64 v[6:7], v[6:7], v[12:13]
	v_mul_f64 v[10:11], v[169:170], s[18:19]
	v_add_f64 v[4:5], v[4:5], v[249:250]
	v_add_f64 v[8:9], v[14:15], -v[8:9]
	v_add_f64 v[6:7], v[6:7], v[217:218]
	v_add_f64 v[10:11], v[10:11], v[20:21]
	;; [unrolled: 1-line block ×3, first 2 shown]
	v_mul_f64 v[8:9], v[187:188], s[24:25]
	v_add_f64 v[6:7], v[10:11], v[6:7]
	v_add_f64 v[10:11], v[237:238], -v[122:123]
	v_mul_f64 v[122:123], v[173:174], s[26:27]
	v_add_f64 v[4:5], v[116:117], v[4:5]
	v_add_f64 v[8:9], v[8:9], v[221:222]
	;; [unrolled: 1-line block ×3, first 2 shown]
	v_mul_f64 v[116:117], v[185:186], s[26:27]
	v_add_f64 v[122:123], v[122:123], v[241:242]
	v_add_f64 v[4:5], v[124:125], v[4:5]
	v_mul_f64 v[124:125], v[211:212], s[10:11]
	v_add_f64 v[6:7], v[8:9], v[6:7]
	v_add_f64 v[116:117], v[116:117], v[229:230]
	v_mul_f64 v[8:9], v[201:202], s[38:39]
	v_mul_f64 v[201:202], v[201:202], s[10:11]
	v_add_f64 v[118:119], v[10:11], v[4:5]
	v_mul_f64 v[4:5], v[179:180], s[22:23]
	v_mul_f64 v[10:11], v[169:170], s[16:17]
	v_add_f64 v[116:117], v[116:117], v[6:7]
	v_mul_f64 v[6:7], v[165:166], s[18:19]
	v_add_f64 v[8:9], v[247:248], -v[8:9]
	v_add_f64 v[124:125], v[253:254], -v[124:125]
	;; [unrolled: 1-line block ×3, first 2 shown]
	v_add_f64 v[10:11], v[10:11], v[235:236]
	v_add_f64 v[6:7], v[6:7], v[233:234]
	v_add_f64 v[4:5], v[4:5], v[126:127]
	v_mul_f64 v[126:127], v[187:188], s[2:3]
	v_add_f64 v[6:7], v[6:7], v[219:220]
	v_add_f64 v[4:5], v[8:9], v[4:5]
	v_mul_f64 v[8:9], v[199:200], s[36:37]
	v_add_f64 v[126:127], v[126:127], v[243:244]
	v_add_f64 v[6:7], v[10:11], v[6:7]
	v_mul_f64 v[10:11], v[185:186], s[20:21]
	v_add_f64 v[4:5], v[120:121], v[4:5]
	v_add_f64 v[8:9], v[205:206], -v[8:9]
	v_mul_f64 v[205:206], v[199:200], s[22:23]
	v_add_f64 v[6:7], v[122:123], v[6:7]
	v_add_f64 v[10:11], v[10:11], v[245:246]
	;; [unrolled: 1-line block ×3, first 2 shown]
	v_fma_f64 v[124:125], v[175:176], s[24:25], -v[142:143]
	v_fma_f64 v[142:143], v[175:176], s[24:25], v[142:143]
	v_add_f64 v[6:7], v[126:127], v[6:7]
	v_add_f64 v[122:123], v[8:9], v[4:5]
	v_mul_f64 v[4:5], v[179:180], s[10:11]
	v_mul_f64 v[8:9], v[167:168], s[10:11]
	v_add_f64 v[120:121], v[10:11], v[6:7]
	v_fma_f64 v[6:7], v[171:172], s[2:3], -v[4:5]
	v_fma_f64 v[10:11], v[165:166], s[2:3], v[8:9]
	v_fma_f64 v[4:5], v[171:172], s[2:3], v[4:5]
	v_fma_f64 v[8:9], v[165:166], s[2:3], -v[8:9]
	v_add_f64 v[6:7], v[6:7], v[150:151]
	v_add_f64 v[10:11], v[10:11], v[227:228]
	v_mul_f64 v[150:151], v[203:204], s[8:9]
	v_add_f64 v[4:5], v[4:5], v[134:135]
	v_fma_f64 v[134:135], v[169:170], s[24:25], -v[144:145]
	v_add_f64 v[8:9], v[8:9], v[132:133]
	v_add_f64 v[6:7], v[124:125], v[6:7]
	v_fma_f64 v[124:125], v[169:170], s[24:25], v[144:145]
	v_fma_f64 v[144:145], v[189:190], s[16:17], v[150:151]
	v_add_f64 v[4:5], v[142:143], v[4:5]
	v_add_f64 v[8:9], v[134:135], v[8:9]
	v_fma_f64 v[134:135], v[187:188], s[26:27], v[138:139]
	v_add_f64 v[10:11], v[124:125], v[10:11]
	v_fma_f64 v[124:125], v[189:190], s[16:17], -v[150:151]
	v_add_f64 v[4:5], v[144:145], v[4:5]
	v_mul_f64 v[150:151], v[199:200], s[8:9]
	v_fma_f64 v[144:145], v[187:188], s[20:21], -v[183:184]
	v_add_f64 v[6:7], v[124:125], v[6:7]
	v_fma_f64 v[124:125], v[173:174], s[16:17], v[152:153]
	v_add_f64 v[10:11], v[124:125], v[10:11]
	v_fma_f64 v[124:125], v[195:196], s[20:21], -v[181:182]
	v_add_f64 v[6:7], v[124:125], v[6:7]
	v_fma_f64 v[124:125], v[187:188], s[20:21], v[183:184]
	v_add_f64 v[10:11], v[124:125], v[10:11]
	v_fma_f64 v[124:125], v[197:198], s[18:19], -v[205:206]
	v_add_f64 v[126:127], v[124:125], v[6:7]
	v_mul_f64 v[6:7], v[191:192], s[22:23]
	s_mov_b32 s23, 0x3fcea1e5
	v_mul_f64 v[211:212], v[211:212], s[22:23]
	v_mul_f64 v[207:208], v[207:208], s[22:23]
	v_fma_f64 v[124:125], v[185:186], s[18:19], v[6:7]
	v_fma_f64 v[6:7], v[185:186], s[18:19], -v[6:7]
	v_add_f64 v[124:125], v[124:125], v[10:11]
	v_mul_f64 v[10:11], v[179:180], s[28:29]
	v_mul_f64 v[179:180], v[179:180], s[30:31]
	v_fma_f64 v[217:218], v[171:172], s[20:21], -v[10:11]
	v_fma_f64 v[10:11], v[171:172], s[20:21], v[10:11]
	v_add_f64 v[140:141], v[217:218], v[140:141]
	v_mul_f64 v[217:218], v[167:168], s[28:29]
	v_mul_f64 v[167:168], v[167:168], s[30:31]
	v_add_f64 v[10:11], v[10:11], v[148:149]
	v_fma_f64 v[219:220], v[165:166], s[20:21], v[217:218]
	v_fma_f64 v[148:149], v[165:166], s[20:21], -v[217:218]
	v_add_f64 v[209:210], v[219:220], v[209:210]
	v_fma_f64 v[219:220], v[175:176], s[26:27], -v[130:131]
	v_fma_f64 v[130:131], v[175:176], s[26:27], v[130:131]
	v_add_f64 v[148:149], v[148:149], v[225:226]
	v_add_f64 v[140:141], v[219:220], v[140:141]
	v_fma_f64 v[219:220], v[169:170], s[26:27], v[136:137]
	v_add_f64 v[10:11], v[130:131], v[10:11]
	v_fma_f64 v[130:131], v[169:170], s[26:27], -v[136:137]
	v_fma_f64 v[136:137], v[187:188], s[26:27], -v[138:139]
	v_add_f64 v[209:210], v[219:220], v[209:210]
	v_mul_f64 v[219:220], v[203:204], s[34:35]
	v_add_f64 v[130:131], v[130:131], v[148:149]
	v_fma_f64 v[148:149], v[173:174], s[16:17], -v[152:153]
	v_fma_f64 v[221:222], v[189:190], s[24:25], -v[219:220]
	v_add_f64 v[8:9], v[148:149], v[8:9]
	v_mul_f64 v[148:149], v[199:200], s[40:41]
	v_add_f64 v[140:141], v[221:222], v[140:141]
	v_mul_f64 v[221:222], v[193:194], s[34:35]
	v_add_f64 v[8:9], v[144:145], v[8:9]
	v_fma_f64 v[223:224], v[173:174], s[24:25], v[221:222]
	v_fma_f64 v[142:143], v[173:174], s[24:25], -v[221:222]
	v_add_f64 v[144:145], v[6:7], v[8:9]
	v_add_f64 v[209:210], v[223:224], v[209:210]
	v_fma_f64 v[223:224], v[195:196], s[18:19], -v[211:212]
	v_add_f64 v[140:141], v[223:224], v[140:141]
	v_fma_f64 v[223:224], v[187:188], s[18:19], v[207:208]
	v_add_f64 v[209:210], v[223:224], v[209:210]
	v_fma_f64 v[223:224], v[171:172], s[24:25], v[179:180]
	v_fma_f64 v[179:180], v[171:172], s[24:25], -v[179:180]
	v_add_f64 v[146:147], v[223:224], v[146:147]
	v_fma_f64 v[223:224], v[165:166], s[24:25], -v[167:168]
	v_add_f64 v[179:180], v[179:180], v[215:216]
	v_fma_f64 v[215:216], v[175:176], s[2:3], v[201:202]
	v_fma_f64 v[167:168], v[165:166], s[24:25], v[167:168]
	v_fma_f64 v[201:202], v[175:176], s[2:3], -v[201:202]
	v_mul_f64 v[165:166], v[191:192], s[40:41]
	v_add_f64 v[213:214], v[223:224], v[213:214]
	v_add_f64 v[146:147], v[215:216], v[146:147]
	;; [unrolled: 1-line block ×3, first 2 shown]
	v_mul_f64 v[167:168], v[177:178], s[10:11]
	v_add_f64 v[179:180], v[201:202], v[179:180]
	v_mul_f64 v[201:202], v[203:204], s[22:23]
	v_fma_f64 v[177:178], v[169:170], s[2:3], -v[167:168]
	v_fma_f64 v[167:168], v[169:170], s[2:3], v[167:168]
	v_fma_f64 v[203:204], v[189:190], s[18:19], v[201:202]
	v_add_f64 v[177:178], v[177:178], v[213:214]
	v_add_f64 v[154:155], v[167:168], v[154:155]
	;; [unrolled: 1-line block ×3, first 2 shown]
	v_fma_f64 v[167:168], v[195:196], s[26:27], v[128:129]
	v_fma_f64 v[128:129], v[195:196], s[26:27], -v[128:129]
	v_add_f64 v[146:147], v[167:168], v[146:147]
	v_mul_f64 v[167:168], v[193:194], s[22:23]
	v_fma_f64 v[193:194], v[173:174], s[18:19], -v[167:168]
	v_fma_f64 v[167:168], v[173:174], s[18:19], v[167:168]
	v_add_f64 v[177:178], v[193:194], v[177:178]
	v_fma_f64 v[193:194], v[189:190], s[18:19], -v[201:202]
	v_add_f64 v[154:155], v[167:168], v[154:155]
	v_add_f64 v[136:137], v[136:137], v[177:178]
	;; [unrolled: 1-line block ×4, first 2 shown]
	v_fma_f64 v[134:135], v[195:196], s[20:21], v[181:182]
	v_fma_f64 v[154:155], v[197:198], s[18:19], v[205:206]
	v_add_f64 v[132:133], v[128:129], v[179:180]
	v_fma_f64 v[128:129], v[189:190], s[24:25], v[219:220]
	v_add_f64 v[4:5], v[134:135], v[4:5]
	v_add_f64 v[10:11], v[128:129], v[10:11]
	;; [unrolled: 1-line block ×3, first 2 shown]
	v_fma_f64 v[142:143], v[187:188], s[18:19], -v[207:208]
	v_fma_f64 v[130:131], v[195:196], s[18:19], v[211:212]
	v_add_f64 v[152:153], v[142:143], v[128:129]
	v_mul_f64 v[128:129], v[191:192], s[8:9]
	v_fma_f64 v[142:143], v[197:198], s[16:17], v[150:151]
	v_fma_f64 v[150:151], v[197:198], s[16:17], -v[150:151]
	v_add_f64 v[10:11], v[130:131], v[10:11]
	v_fma_f64 v[130:131], v[197:198], s[2:3], -v[148:149]
	v_fma_f64 v[148:149], v[197:198], s[2:3], v[148:149]
	v_fma_f64 v[167:168], v[185:186], s[16:17], v[128:129]
	v_fma_f64 v[169:170], v[185:186], s[16:17], -v[128:129]
	v_add_f64 v[134:135], v[150:151], v[132:133]
	v_fma_f64 v[128:129], v[185:186], s[2:3], v[165:166]
	v_fma_f64 v[165:166], v[185:186], s[2:3], -v[165:166]
	v_add_f64 v[130:131], v[130:131], v[140:141]
	v_add_f64 v[132:133], v[167:168], v[138:139]
	;; [unrolled: 1-line block ×4, first 2 shown]
	buffer_load_dword v5, off, s[48:51], 0 offset:12 ; 4-byte Folded Reload
	v_add_f64 v[128:129], v[128:129], v[209:210]
	v_add_f64 v[136:137], v[169:170], v[136:137]
	;; [unrolled: 1-line block ×4, first 2 shown]
	v_mov_b32_e32 v4, 4
	s_waitcnt vmcnt(0)
	v_lshlrev_b32_sdwa v4, v4, v5 dst_sel:DWORD dst_unused:UNUSED_PAD src0_sel:DWORD src1_sel:WORD_0
	ds_write_b128 v4, v[0:3]
	ds_write_b128 v4, v[124:127] offset:16
	ds_write_b128 v4, v[116:119] offset:32
	;; [unrolled: 1-line block ×12, first 2 shown]
.LBB0_21:
	s_or_b32 exec_lo, exec_lo, s33
	s_waitcnt lgkmcnt(0)
	s_barrier
	buffer_gl0_inv
	ds_read_b128 v[0:3], v255
	ds_read_b128 v[108:111], v255 offset:2496
	ds_read_b128 v[124:127], v255 offset:16224
	;; [unrolled: 1-line block ×9, first 2 shown]
	s_mov_b32 s2, exec_lo
	buffer_load_dword v165, off, s[48:51], 0 offset:8 ; 4-byte Folded Reload
	s_and_b32 s3, s2, s0
	s_mov_b32 exec_lo, s3
	s_cbranch_execz .LBB0_23
; %bb.22:
	ds_read_b128 v[156:159], v255 offset:12480
	ds_read_b128 v[160:163], v255 offset:26208
.LBB0_23:
	s_or_b32 exec_lo, exec_lo, s2
	s_waitcnt lgkmcnt(3)
	v_mul_f64 v[4:5], v[34:35], v[142:143]
	v_mul_f64 v[6:7], v[34:35], v[140:141]
	;; [unrolled: 1-line block ×6, first 2 shown]
	s_waitcnt lgkmcnt(1)
	v_mul_f64 v[42:43], v[46:47], v[138:139]
	v_mul_f64 v[46:47], v[46:47], v[136:137]
	s_waitcnt vmcnt(0) lgkmcnt(0)
	s_barrier
	buffer_gl0_inv
	v_mul_f64 v[144:145], v[30:31], v[134:135]
	v_mul_f64 v[30:31], v[30:31], v[132:133]
	;; [unrolled: 1-line block ×4, first 2 shown]
	v_fma_f64 v[4:5], v[32:33], v[140:141], v[4:5]
	v_fma_f64 v[6:7], v[32:33], v[142:143], -v[6:7]
	v_fma_f64 v[8:9], v[36:37], v[124:125], v[8:9]
	v_fma_f64 v[10:11], v[36:37], v[126:127], -v[10:11]
	;; [unrolled: 2-line block ×6, first 2 shown]
	v_add_f64 v[44:45], v[0:1], -v[4:5]
	buffer_load_dword v4, off, s[48:51], 0 offset:36 ; 4-byte Folded Reload
	v_add_f64 v[46:47], v[2:3], -v[6:7]
	v_add_f64 v[124:125], v[108:109], -v[8:9]
	;; [unrolled: 1-line block ×11, first 2 shown]
	v_fma_f64 v[132:133], v[0:1], 2.0, -v[44:45]
	v_fma_f64 v[134:135], v[2:3], 2.0, -v[46:47]
	;; [unrolled: 1-line block ×8, first 2 shown]
	s_waitcnt vmcnt(0)
	ds_write_b128 v4, v[44:47] offset:208
	ds_write_b128 v4, v[132:135]
	buffer_load_dword v4, off, s[48:51], 0 offset:32 ; 4-byte Folded Reload
	v_fma_f64 v[28:29], v[120:121], 2.0, -v[32:33]
	v_fma_f64 v[30:31], v[122:123], 2.0, -v[34:35]
	v_fma_f64 v[36:37], v[156:157], 2.0, -v[40:41]
	v_fma_f64 v[38:39], v[158:159], 2.0, -v[42:43]
	s_waitcnt vmcnt(0)
	ds_write_b128 v4, v[108:111]
	ds_write_b128 v4, v[124:127] offset:208
	buffer_load_dword v4, off, s[48:51], 0 offset:28 ; 4-byte Folded Reload
	s_waitcnt vmcnt(0)
	ds_write_b128 v4, v[116:119]
	ds_write_b128 v4, v[128:131] offset:208
	buffer_load_dword v4, off, s[48:51], 0 offset:24 ; 4-byte Folded Reload
	;; [unrolled: 4-line block ×3, first 2 shown]
	s_waitcnt vmcnt(0)
	ds_write_b128 v4, v[28:31]
	ds_write_b128 v4, v[32:35] offset:208
	s_and_saveexec_b32 s2, s0
	s_cbranch_execz .LBB0_25
; %bb.24:
	buffer_load_dword v5, off, s[48:51], 0 offset:16 ; 4-byte Folded Reload
	v_mov_b32_e32 v4, 4
	s_waitcnt vmcnt(0)
	v_lshlrev_b32_sdwa v4, v4, v5 dst_sel:DWORD dst_unused:UNUSED_PAD src0_sel:DWORD src1_sel:WORD_0
	ds_write_b128 v4, v[36:39]
	ds_write_b128 v4, v[40:43] offset:208
.LBB0_25:
	s_or_b32 exec_lo, exec_lo, s2
	s_waitcnt lgkmcnt(0)
	s_barrier
	buffer_gl0_inv
	ds_read_b128 v[44:47], v255
	ds_read_b128 v[108:111], v255 offset:4576
	ds_read_b128 v[112:115], v255 offset:9152
	;; [unrolled: 1-line block ×5, first 2 shown]
	s_and_saveexec_b32 s0, s1
	s_cbranch_execz .LBB0_27
; %bb.26:
	ds_read_b128 v[0:3], v255 offset:2496
	ds_read_b128 v[24:27], v255 offset:7072
	;; [unrolled: 1-line block ×6, first 2 shown]
.LBB0_27:
	s_or_b32 exec_lo, exec_lo, s0
	s_waitcnt lgkmcnt(2)
	v_mul_f64 v[4:5], v[82:83], v[120:121]
	s_waitcnt lgkmcnt(0)
	v_mul_f64 v[6:7], v[86:87], v[124:125]
	v_mul_f64 v[8:9], v[90:91], v[108:109]
	v_mul_f64 v[10:11], v[82:83], v[122:123]
	v_mul_f64 v[82:83], v[86:87], v[126:127]
	v_mul_f64 v[86:87], v[90:91], v[110:111]
	v_mul_f64 v[90:91], v[98:99], v[114:115]
	v_mul_f64 v[98:99], v[98:99], v[112:113]
	s_mov_b32 s2, 0xe8584caa
	s_mov_b32 s3, 0xbfebb67a
	;; [unrolled: 1-line block ×4, first 2 shown]
	s_barrier
	buffer_gl0_inv
	v_fma_f64 v[4:5], v[80:81], v[122:123], -v[4:5]
	v_fma_f64 v[6:7], v[84:85], v[126:127], -v[6:7]
	v_mul_f64 v[122:123], v[94:95], v[118:119]
	v_mul_f64 v[94:95], v[94:95], v[116:117]
	v_fma_f64 v[10:11], v[80:81], v[120:121], v[10:11]
	v_fma_f64 v[80:81], v[84:85], v[124:125], v[82:83]
	v_fma_f64 v[8:9], v[88:89], v[110:111], -v[8:9]
	v_fma_f64 v[84:85], v[96:97], v[112:113], v[90:91]
	v_fma_f64 v[90:91], v[96:97], v[114:115], -v[98:99]
	v_fma_f64 v[86:87], v[88:89], v[108:109], v[86:87]
	v_add_f64 v[82:83], v[4:5], v[6:7]
	v_fma_f64 v[96:97], v[92:93], v[116:117], v[122:123]
	v_fma_f64 v[92:93], v[92:93], v[118:119], -v[94:95]
	v_add_f64 v[110:111], v[4:5], -v[6:7]
	v_add_f64 v[88:89], v[10:11], v[80:81]
	v_add_f64 v[94:95], v[10:11], -v[80:81]
	v_add_f64 v[4:5], v[8:9], v[4:5]
	v_add_f64 v[10:11], v[86:87], v[10:11]
	v_fma_f64 v[82:83], v[82:83], -0.5, v[8:9]
	v_add_f64 v[98:99], v[84:85], v[96:97]
	v_add_f64 v[108:109], v[90:91], v[92:93]
	v_add_f64 v[114:115], v[90:91], -v[92:93]
	v_fma_f64 v[88:89], v[88:89], -0.5, v[86:87]
	v_add_f64 v[90:91], v[46:47], v[90:91]
	v_add_f64 v[4:5], v[4:5], v[6:7]
	;; [unrolled: 1-line block ×3, first 2 shown]
	v_fma_f64 v[112:113], v[94:95], s[8:9], v[82:83]
	v_fma_f64 v[82:83], v[94:95], s[2:3], v[82:83]
	v_add_f64 v[94:95], v[44:45], v[84:85]
	v_add_f64 v[84:85], v[84:85], -v[96:97]
	v_fma_f64 v[8:9], v[98:99], -0.5, v[44:45]
	v_fma_f64 v[44:45], v[108:109], -0.5, v[46:47]
	v_fma_f64 v[46:47], v[110:111], s[2:3], v[88:89]
	v_fma_f64 v[86:87], v[110:111], s[8:9], v[88:89]
	v_add_f64 v[90:91], v[90:91], v[92:93]
	v_mul_f64 v[88:89], v[112:113], s[2:3]
	v_mul_f64 v[98:99], v[82:83], s[2:3]
	v_mul_f64 v[108:109], v[112:113], 0.5
	v_mul_f64 v[82:83], v[82:83], -0.5
	v_add_f64 v[94:95], v[94:95], v[96:97]
	v_fma_f64 v[6:7], v[114:115], s[2:3], v[8:9]
	v_fma_f64 v[110:111], v[84:85], s[8:9], v[44:45]
	v_fma_f64 v[8:9], v[114:115], s[8:9], v[8:9]
	v_fma_f64 v[112:113], v[84:85], s[2:3], v[44:45]
	v_fma_f64 v[92:93], v[46:47], 0.5, v[88:89]
	v_fma_f64 v[96:97], v[86:87], -0.5, v[98:99]
	v_fma_f64 v[98:99], v[46:47], s[8:9], v[108:109]
	v_fma_f64 v[108:109], v[86:87], s[8:9], v[82:83]
	v_add_f64 v[44:45], v[94:95], v[10:11]
	v_add_f64 v[46:47], v[90:91], v[4:5]
	v_add_f64 v[80:81], v[94:95], -v[10:11]
	v_add_f64 v[82:83], v[90:91], -v[4:5]
	v_add_f64 v[84:85], v[6:7], v[92:93]
	v_add_f64 v[88:89], v[8:9], v[96:97]
	;; [unrolled: 1-line block ×4, first 2 shown]
	v_add_f64 v[92:93], v[6:7], -v[92:93]
	v_add_f64 v[94:95], v[110:111], -v[98:99]
	;; [unrolled: 1-line block ×4, first 2 shown]
	ds_write_b128 v164, v[44:47]
	ds_write_b128 v164, v[80:83] offset:1248
	ds_write_b128 v164, v[84:87] offset:416
	;; [unrolled: 1-line block ×5, first 2 shown]
	s_and_saveexec_b32 s0, s1
	s_cbranch_execz .LBB0_29
; %bb.28:
	s_clause 0x13
	buffer_load_dword v44, off, s[48:51], 0 offset:44
	buffer_load_dword v45, off, s[48:51], 0 offset:48
	;; [unrolled: 1-line block ×20, first 2 shown]
	s_waitcnt vmcnt(16)
	v_mul_f64 v[4:5], v[46:47], v[32:33]
	s_waitcnt vmcnt(12)
	v_mul_f64 v[6:7], v[22:23], v[40:41]
	v_mul_f64 v[8:9], v[46:47], v[34:35]
	;; [unrolled: 1-line block ×3, first 2 shown]
	s_waitcnt vmcnt(8)
	v_mul_f64 v[22:23], v[18:19], v[24:25]
	v_mul_f64 v[18:19], v[18:19], v[26:27]
	v_fma_f64 v[4:5], v[44:45], v[34:35], -v[4:5]
	v_fma_f64 v[6:7], v[20:21], v[42:43], -v[6:7]
	s_waitcnt vmcnt(4)
	v_mul_f64 v[34:35], v[14:15], v[28:29]
	s_waitcnt vmcnt(0)
	v_mul_f64 v[42:43], v[82:83], v[36:37]
	v_fma_f64 v[8:9], v[44:45], v[32:33], v[8:9]
	v_fma_f64 v[10:11], v[20:21], v[40:41], v[10:11]
	v_fma_f64 v[20:21], v[16:17], v[26:27], -v[22:23]
	v_mul_f64 v[14:15], v[14:15], v[30:31]
	v_mul_f64 v[26:27], v[82:83], v[38:39]
	v_fma_f64 v[16:17], v[16:17], v[24:25], v[18:19]
	v_add_f64 v[22:23], v[4:5], v[6:7]
	v_fma_f64 v[30:31], v[12:13], v[30:31], -v[34:35]
	v_fma_f64 v[32:33], v[80:81], v[38:39], -v[42:43]
	v_add_f64 v[18:19], v[8:9], v[10:11]
	v_add_f64 v[24:25], v[8:9], -v[10:11]
	v_fma_f64 v[12:13], v[12:13], v[28:29], v[14:15]
	v_fma_f64 v[14:15], v[80:81], v[36:37], v[26:27]
	v_add_f64 v[28:29], v[4:5], -v[6:7]
	v_add_f64 v[4:5], v[20:21], v[4:5]
	v_add_f64 v[8:9], v[16:17], v[8:9]
	v_fma_f64 v[22:23], v[22:23], -0.5, v[20:21]
	v_add_f64 v[38:39], v[2:3], v[30:31]
	v_add_f64 v[26:27], v[30:31], v[32:33]
	v_add_f64 v[20:21], v[30:31], -v[32:33]
	v_fma_f64 v[18:19], v[18:19], -0.5, v[16:17]
	v_add_f64 v[36:37], v[12:13], -v[14:15]
	v_add_f64 v[4:5], v[4:5], v[6:7]
	v_add_f64 v[8:9], v[8:9], v[10:11]
	v_fma_f64 v[34:35], v[24:25], s[2:3], v[22:23]
	v_fma_f64 v[22:23], v[24:25], s[8:9], v[22:23]
	v_add_f64 v[24:25], v[12:13], v[14:15]
	v_add_f64 v[12:13], v[0:1], v[12:13]
	v_fma_f64 v[2:3], v[26:27], -0.5, v[2:3]
	v_fma_f64 v[16:17], v[28:29], s[8:9], v[18:19]
	v_add_f64 v[30:31], v[38:39], v[32:33]
	v_fma_f64 v[18:19], v[28:29], s[2:3], v[18:19]
	v_mul_f64 v[26:27], v[34:35], -0.5
	v_mul_f64 v[28:29], v[22:23], 0.5
	v_fma_f64 v[0:1], v[24:25], -0.5, v[0:1]
	v_mul_f64 v[24:25], v[34:35], s[2:3]
	v_add_f64 v[12:13], v[12:13], v[14:15]
	v_fma_f64 v[32:33], v[36:37], s[2:3], v[2:3]
	v_fma_f64 v[34:35], v[36:37], s[8:9], v[2:3]
	v_add_f64 v[2:3], v[30:31], -v[4:5]
	v_add_f64 v[6:7], v[30:31], v[4:5]
	v_mul_f64 v[22:23], v[22:23], s[2:3]
	v_fma_f64 v[26:27], v[16:17], s[8:9], v[26:27]
	v_fma_f64 v[28:29], v[18:19], s[8:9], v[28:29]
	v_fma_f64 v[36:37], v[20:21], s[8:9], v[0:1]
	v_fma_f64 v[24:25], v[16:17], -0.5, v[24:25]
	v_fma_f64 v[38:39], v[20:21], s[2:3], v[0:1]
	v_add_f64 v[0:1], v[12:13], -v[8:9]
	v_add_f64 v[4:5], v[12:13], v[8:9]
	v_fma_f64 v[40:41], v[18:19], 0.5, v[22:23]
	v_add_f64 v[18:19], v[32:33], v[26:27]
	v_add_f64 v[22:23], v[34:35], v[28:29]
	v_add_f64 v[14:15], v[34:35], -v[28:29]
	v_add_f64 v[16:17], v[36:37], v[24:25]
	v_add_f64 v[8:9], v[36:37], -v[24:25]
	buffer_load_dword v25, off, s[48:51], 0 offset:40 ; 4-byte Folded Reload
	v_add_f64 v[10:11], v[32:33], -v[26:27]
	v_mov_b32_e32 v24, 4
	v_add_f64 v[20:21], v[38:39], v[40:41]
	v_add_f64 v[12:13], v[38:39], -v[40:41]
	s_waitcnt vmcnt(0)
	v_lshlrev_b32_sdwa v24, v24, v25 dst_sel:DWORD dst_unused:UNUSED_PAD src0_sel:DWORD src1_sel:WORD_0
	ds_write_b128 v24, v[4:7]
	ds_write_b128 v24, v[0:3] offset:1248
	ds_write_b128 v24, v[20:23] offset:416
	;; [unrolled: 1-line block ×5, first 2 shown]
.LBB0_29:
	s_or_b32 exec_lo, exec_lo, s0
	s_waitcnt lgkmcnt(0)
	s_barrier
	buffer_gl0_inv
	ds_read_b128 v[4:7], v255 offset:2496
	ds_read_b128 v[0:3], v255
	ds_read_b128 v[8:11], v255 offset:4992
	ds_read_b128 v[12:15], v255 offset:7488
	;; [unrolled: 1-line block ×9, first 2 shown]
	s_mov_b32 s2, 0xf8bb580b
	s_mov_b32 s8, 0x8764f0ba
	;; [unrolled: 1-line block ×9, first 2 shown]
	s_waitcnt lgkmcnt(10)
	v_mul_f64 v[46:47], v[74:75], v[4:5]
	v_mul_f64 v[44:45], v[74:75], v[6:7]
	s_waitcnt lgkmcnt(8)
	v_mul_f64 v[80:81], v[66:67], v[10:11]
	v_mul_f64 v[66:67], v[66:67], v[8:9]
	;; [unrolled: 3-line block ×6, first 2 shown]
	v_mul_f64 v[90:91], v[70:71], v[30:31]
	v_mul_f64 v[70:71], v[70:71], v[28:29]
	s_mov_b32 s22, 0x640f44db
	s_mov_b32 s21, 0xbfefac9e
	;; [unrolled: 1-line block ×8, first 2 shown]
	v_fma_f64 v[46:47], v[72:73], v[6:7], -v[46:47]
	v_fma_f64 v[44:45], v[72:73], v[4:5], v[44:45]
	v_mul_f64 v[6:7], v[106:107], v[42:43]
	v_fma_f64 v[10:11], v[64:65], v[10:11], -v[66:67]
	v_fma_f64 v[8:9], v[64:65], v[8:9], v[80:81]
	v_fma_f64 v[14:15], v[52:53], v[14:15], -v[54:55]
	v_fma_f64 v[16:17], v[48:49], v[16:17], v[88:89]
	;; [unrolled: 2-line block ×3, first 2 shown]
	v_fma_f64 v[34:35], v[76:77], v[34:35], -v[78:79]
	v_fma_f64 v[4:5], v[104:105], v[42:43], -v[74:75]
	v_mul_f64 v[42:43], v[58:59], v[22:23]
	v_mul_f64 v[58:59], v[58:59], v[20:21]
	;; [unrolled: 1-line block ×4, first 2 shown]
	v_fma_f64 v[32:33], v[76:77], v[32:33], v[86:87]
	v_mul_f64 v[72:73], v[102:103], v[38:39]
	v_fma_f64 v[38:39], v[100:101], v[38:39], -v[82:83]
	v_fma_f64 v[30:31], v[68:69], v[30:31], -v[70:71]
	s_mov_b32 s1, 0x3fe14ced
	s_mov_b32 s17, 0x3fed1bb4
	;; [unrolled: 1-line block ×3, first 2 shown]
	v_add_f64 v[66:67], v[2:3], v[46:47]
	v_add_f64 v[64:65], v[0:1], v[44:45]
	v_fma_f64 v[6:7], v[104:105], v[40:41], v[6:7]
	s_mov_b32 s31, 0xbfd207e7
	s_mov_b32 s37, 0xbfeeb42a
	;; [unrolled: 1-line block ×4, first 2 shown]
	v_fma_f64 v[28:29], v[68:69], v[28:29], v[90:91]
	s_mov_b32 s27, 0x3fefac9e
	s_mov_b32 s39, 0x3fd207e7
	v_add_f64 v[40:41], v[46:47], -v[4:5]
	v_fma_f64 v[20:21], v[56:57], v[20:21], v[42:43]
	v_fma_f64 v[22:23], v[56:57], v[22:23], -v[58:59]
	v_add_f64 v[58:59], v[14:15], v[34:35]
	v_fma_f64 v[26:27], v[60:61], v[26:27], -v[62:63]
	v_add_f64 v[62:63], v[14:15], -v[34:35]
	v_fma_f64 v[24:25], v[60:61], v[24:25], v[74:75]
	v_add_f64 v[56:57], v[12:13], v[32:33]
	v_add_f64 v[60:61], v[12:13], -v[32:33]
	v_add_f64 v[46:47], v[46:47], v[4:5]
	v_fma_f64 v[36:37], v[100:101], v[36:37], v[72:73]
	v_add_f64 v[54:55], v[10:11], -v[38:39]
	v_add_f64 v[48:49], v[66:67], v[10:11]
	v_add_f64 v[42:43], v[64:65], v[8:9]
	;; [unrolled: 1-line block ×3, first 2 shown]
	v_add_f64 v[44:45], v[44:45], -v[6:7]
	v_add_f64 v[10:11], v[10:11], v[38:39]
	s_mov_b32 s26, s20
	s_mov_b32 s38, s30
	;; [unrolled: 1-line block ×4, first 2 shown]
	v_add_f64 v[66:67], v[18:19], v[30:31]
	v_mul_f64 v[70:71], v[40:41], s[2:3]
	v_mul_f64 v[74:75], v[40:41], s[10:11]
	v_mul_f64 v[78:79], v[40:41], s[24:25]
	v_add_f64 v[68:69], v[18:19], -v[30:31]
	v_mul_f64 v[100:101], v[58:59], s[22:23]
	v_mul_f64 v[98:99], v[62:63], s[20:21]
	;; [unrolled: 1-line block ×7, first 2 shown]
	v_add_f64 v[52:53], v[8:9], v[36:37]
	v_add_f64 v[14:15], v[48:49], v[14:15]
	;; [unrolled: 1-line block ×3, first 2 shown]
	v_mul_f64 v[42:43], v[40:41], s[20:21]
	v_mul_f64 v[48:49], v[46:47], s[22:23]
	v_add_f64 v[8:9], v[8:9], -v[36:37]
	v_mul_f64 v[80:81], v[46:47], s[28:29]
	v_mul_f64 v[40:41], v[40:41], s[30:31]
	;; [unrolled: 1-line block ×6, first 2 shown]
	v_fma_f64 v[112:113], v[50:51], s[8:9], v[70:71]
	v_fma_f64 v[70:71], v[50:51], s[8:9], -v[70:71]
	v_fma_f64 v[116:117], v[50:51], s[18:19], v[74:75]
	v_mul_f64 v[90:91], v[54:55], s[38:39]
	v_mul_f64 v[92:93], v[10:11], s[36:37]
	;; [unrolled: 1-line block ×3, first 2 shown]
	v_fma_f64 v[124:125], v[50:51], s[28:29], v[78:79]
	v_mul_f64 v[86:87], v[54:55], s[24:25]
	v_fma_f64 v[114:115], v[44:45], s[0:1], v[72:73]
	v_fma_f64 v[72:73], v[44:45], s[2:3], v[72:73]
	;; [unrolled: 1-line block ×3, first 2 shown]
	v_add_f64 v[14:15], v[14:15], v[18:19]
	v_add_f64 v[12:13], v[12:13], v[16:17]
	v_fma_f64 v[120:121], v[50:51], s[22:23], v[42:43]
	v_fma_f64 v[122:123], v[44:45], s[26:27], v[48:49]
	v_fma_f64 v[42:43], v[50:51], s[22:23], -v[42:43]
	v_fma_f64 v[48:49], v[44:45], s[20:21], v[48:49]
	v_fma_f64 v[76:77], v[44:45], s[10:11], v[76:77]
	v_mul_f64 v[96:97], v[10:11], s[22:23]
	v_mul_f64 v[54:55], v[54:55], s[0:1]
	;; [unrolled: 1-line block ×3, first 2 shown]
	v_fma_f64 v[74:75], v[50:51], s[18:19], -v[74:75]
	v_fma_f64 v[126:127], v[44:45], s[34:35], v[80:81]
	v_fma_f64 v[78:79], v[50:51], s[28:29], -v[78:79]
	v_fma_f64 v[80:81], v[44:45], s[24:25], v[80:81]
	v_fma_f64 v[128:129], v[50:51], s[36:37], v[40:41]
	;; [unrolled: 1-line block ×3, first 2 shown]
	v_fma_f64 v[40:41], v[50:51], s[36:37], -v[40:41]
	v_fma_f64 v[44:45], v[44:45], s[30:31], v[46:47]
	v_fma_f64 v[46:47], v[52:53], s[18:19], v[82:83]
	;; [unrolled: 1-line block ×4, first 2 shown]
	v_add_f64 v[112:113], v[0:1], v[112:113]
	v_add_f64 v[14:15], v[14:15], v[22:23]
	;; [unrolled: 1-line block ×4, first 2 shown]
	v_mul_f64 v[18:19], v[62:63], s[16:17]
	v_fma_f64 v[136:137], v[52:53], s[36:37], v[90:91]
	v_fma_f64 v[138:139], v[8:9], s[30:31], v[92:93]
	v_fma_f64 v[90:91], v[52:53], s[36:37], -v[90:91]
	v_fma_f64 v[92:93], v[8:9], s[38:39], v[92:93]
	v_add_f64 v[42:43], v[0:1], v[42:43]
	v_add_f64 v[48:49], v[2:3], v[48:49]
	v_fma_f64 v[82:83], v[52:53], s[18:19], -v[82:83]
	v_fma_f64 v[84:85], v[8:9], s[10:11], v[84:85]
	v_fma_f64 v[88:89], v[8:9], s[24:25], v[88:89]
	;; [unrolled: 1-line block ×3, first 2 shown]
	v_add_f64 v[76:77], v[2:3], v[76:77]
	v_mul_f64 v[102:103], v[62:63], s[38:39]
	v_mul_f64 v[110:111], v[58:59], s[8:9]
	v_fma_f64 v[132:133], v[52:53], s[28:29], v[86:87]
	v_fma_f64 v[86:87], v[52:53], s[28:29], -v[86:87]
	v_fma_f64 v[142:143], v[8:9], s[20:21], v[96:97]
	v_fma_f64 v[94:95], v[52:53], s[22:23], -v[94:95]
	v_fma_f64 v[96:97], v[8:9], s[26:27], v[96:97]
	v_add_f64 v[14:15], v[14:15], v[26:27]
	v_add_f64 v[12:13], v[12:13], v[24:25]
	v_fma_f64 v[144:145], v[52:53], s[8:9], v[54:55]
	v_fma_f64 v[146:147], v[8:9], s[2:3], v[10:11]
	v_fma_f64 v[52:53], v[52:53], s[8:9], -v[54:55]
	v_fma_f64 v[8:9], v[8:9], s[0:1], v[10:11]
	v_fma_f64 v[10:11], v[56:57], s[22:23], v[98:99]
	;; [unrolled: 1-line block ×4, first 2 shown]
	v_add_f64 v[74:75], v[0:1], v[74:75]
	v_add_f64 v[78:79], v[0:1], v[78:79]
	;; [unrolled: 1-line block ×3, first 2 shown]
	v_mul_f64 v[62:63], v[62:63], s[24:25]
	v_fma_f64 v[152:153], v[56:57], s[18:19], v[18:19]
	v_fma_f64 v[154:155], v[60:61], s[10:11], v[106:107]
	v_fma_f64 v[18:19], v[56:57], s[18:19], -v[18:19]
	v_fma_f64 v[106:107], v[60:61], s[16:17], v[106:107]
	v_add_f64 v[42:43], v[90:91], v[42:43]
	v_add_f64 v[48:49], v[92:93], v[48:49]
	;; [unrolled: 1-line block ×3, first 2 shown]
	v_mul_f64 v[58:59], v[58:59], s[28:29]
	v_fma_f64 v[98:99], v[56:57], s[22:23], -v[98:99]
	v_add_f64 v[14:15], v[14:15], v[30:31]
	v_add_f64 v[12:13], v[12:13], v[28:29]
	;; [unrolled: 1-line block ×16, first 2 shown]
	v_add_f64 v[16:17], v[16:17], -v[28:29]
	v_mul_f64 v[28:29], v[68:69], s[24:25]
	v_fma_f64 v[100:101], v[60:61], s[20:21], v[100:101]
	v_fma_f64 v[148:149], v[56:57], s[36:37], v[102:103]
	v_fma_f64 v[102:103], v[56:57], s[36:37], -v[102:103]
	v_add_f64 v[50:51], v[86:87], v[74:75]
	v_add_f64 v[14:15], v[14:15], v[34:35]
	;; [unrolled: 1-line block ×8, first 2 shown]
	v_fma_f64 v[104:105], v[60:61], s[38:39], v[104:105]
	v_add_f64 v[76:77], v[140:141], v[122:123]
	v_add_f64 v[82:83], v[142:143], v[124:125]
	;; [unrolled: 1-line block ×8, first 2 shown]
	v_fma_f64 v[40:41], v[60:61], s[0:1], v[110:111]
	v_mul_f64 v[52:53], v[66:67], s[22:23]
	v_fma_f64 v[54:55], v[56:57], s[8:9], -v[108:109]
	v_fma_f64 v[88:89], v[60:61], s[2:3], v[110:111]
	v_add_f64 v[18:19], v[18:19], v[42:43]
	v_add_f64 v[42:43], v[106:107], v[48:49]
	;; [unrolled: 1-line block ×3, first 2 shown]
	v_fma_f64 v[38:39], v[56:57], s[8:9], v[108:109]
	v_add_f64 v[12:13], v[12:13], v[36:37]
	v_mul_f64 v[36:37], v[66:67], s[28:29]
	v_fma_f64 v[48:49], v[56:57], s[28:29], -v[62:63]
	v_add_f64 v[44:45], v[150:151], v[46:47]
	v_mul_f64 v[46:47], v[68:69], s[26:27]
	v_add_f64 v[72:73], v[136:137], v[118:119]
	v_fma_f64 v[90:91], v[56:57], s[28:29], v[62:63]
	v_mul_f64 v[62:63], v[68:69], s[2:3]
	v_add_f64 v[74:75], v[138:139], v[120:121]
	v_add_f64 v[30:31], v[98:99], v[30:31]
	v_fma_f64 v[92:93], v[60:61], s[34:35], v[58:59]
	v_fma_f64 v[56:57], v[60:61], s[24:25], v[58:59]
	v_fma_f64 v[58:59], v[64:65], s[28:29], v[28:29]
	v_fma_f64 v[28:29], v[64:65], s[28:29], -v[28:29]
	v_add_f64 v[32:33], v[100:101], v[32:33]
	v_add_f64 v[34:35], v[148:149], v[34:35]
	;; [unrolled: 1-line block ×4, first 2 shown]
	v_fma_f64 v[94:95], v[16:17], s[20:21], v[52:53]
	v_add_f64 v[70:71], v[104:105], v[70:71]
	v_add_f64 v[54:55], v[54:55], v[78:79]
	;; [unrolled: 1-line block ×3, first 2 shown]
	v_mul_f64 v[76:77], v[66:67], s[8:9]
	v_fma_f64 v[60:61], v[16:17], s[34:35], v[36:37]
	v_fma_f64 v[36:37], v[16:17], s[24:25], v[36:37]
	;; [unrolled: 1-line block ×4, first 2 shown]
	v_fma_f64 v[46:47], v[64:65], s[22:23], -v[46:47]
	v_add_f64 v[78:79], v[88:89], v[80:81]
	v_mul_f64 v[80:81], v[68:69], s[30:31]
	v_mul_f64 v[88:89], v[66:67], s[36:37]
	;; [unrolled: 1-line block ×4, first 2 shown]
	v_add_f64 v[0:1], v[48:49], v[0:1]
	v_add_f64 v[48:49], v[22:23], -v[26:27]
	v_add_f64 v[22:23], v[22:23], v[26:27]
	v_add_f64 v[84:85], v[144:145], v[126:127]
	;; [unrolled: 1-line block ×4, first 2 shown]
	v_fma_f64 v[26:27], v[64:65], s[8:9], v[62:63]
	v_add_f64 v[74:75], v[154:155], v[74:75]
	v_add_f64 v[28:29], v[28:29], v[30:31]
	;; [unrolled: 1-line block ×4, first 2 shown]
	v_fma_f64 v[30:31], v[16:17], s[0:1], v[76:77]
	v_add_f64 v[10:11], v[60:61], v[10:11]
	v_add_f64 v[56:57], v[36:37], v[32:33]
	v_fma_f64 v[36:37], v[64:65], s[8:9], -v[62:63]
	v_add_f64 v[32:33], v[82:83], v[34:35]
	v_add_f64 v[34:35], v[94:95], v[44:45]
	;; [unrolled: 1-line block ×3, first 2 shown]
	v_fma_f64 v[50:51], v[16:17], s[2:3], v[76:77]
	v_add_f64 v[46:47], v[52:53], v[70:71]
	v_fma_f64 v[52:53], v[64:65], s[36:37], v[80:81]
	v_fma_f64 v[58:59], v[16:17], s[38:39], v[88:89]
	v_fma_f64 v[60:61], v[64:65], s[36:37], -v[80:81]
	v_fma_f64 v[62:63], v[16:17], s[30:31], v[88:89]
	v_fma_f64 v[70:71], v[64:65], s[18:19], v[68:69]
	;; [unrolled: 1-line block ×3, first 2 shown]
	v_fma_f64 v[64:65], v[64:65], s[18:19], -v[68:69]
	v_fma_f64 v[16:17], v[16:17], s[16:17], v[66:67]
	v_add_f64 v[66:67], v[20:21], v[24:25]
	v_add_f64 v[20:21], v[20:21], -v[24:25]
	v_mul_f64 v[24:25], v[48:49], s[30:31]
	v_mul_f64 v[68:69], v[22:23], s[36:37]
	v_add_f64 v[84:85], v[90:91], v[84:85]
	v_add_f64 v[86:87], v[92:93], v[86:87]
	;; [unrolled: 1-line block ×3, first 2 shown]
	v_mul_f64 v[72:73], v[48:49], s[0:1]
	v_mul_f64 v[80:81], v[22:23], s[8:9]
	v_add_f64 v[30:31], v[30:31], v[74:75]
	v_mul_f64 v[74:75], v[48:49], s[24:25]
	v_mul_f64 v[82:83], v[22:23], s[28:29]
	v_add_f64 v[18:19], v[36:37], v[18:19]
	;; [unrolled: 3-line block ×4, first 2 shown]
	v_add_f64 v[48:49], v[60:61], v[54:55]
	v_add_f64 v[52:53], v[62:63], v[78:79]
	;; [unrolled: 1-line block ×5, first 2 shown]
	v_fma_f64 v[16:17], v[66:67], s[36:37], v[24:25]
	v_fma_f64 v[64:65], v[20:21], s[38:39], v[68:69]
	v_add_f64 v[54:55], v[70:71], v[84:85]
	v_add_f64 v[58:59], v[76:77], v[86:87]
	v_fma_f64 v[24:25], v[66:67], s[36:37], -v[24:25]
	v_fma_f64 v[70:71], v[66:67], s[8:9], v[72:73]
	v_fma_f64 v[76:77], v[20:21], s[2:3], v[80:81]
	v_fma_f64 v[72:73], v[66:67], s[8:9], -v[72:73]
	v_fma_f64 v[78:79], v[66:67], s[28:29], v[74:75]
	v_fma_f64 v[84:85], v[20:21], s[34:35], v[82:83]
	;; [unrolled: 3-line block ×5, first 2 shown]
	v_fma_f64 v[82:83], v[20:21], s[24:25], v[82:83]
	v_fma_f64 v[80:81], v[20:21], s[0:1], v[80:81]
	;; [unrolled: 1-line block ×3, first 2 shown]
	v_add_f64 v[0:1], v[12:13], v[6:7]
	v_add_f64 v[2:3], v[14:15], v[4:5]
	;; [unrolled: 1-line block ×22, first 2 shown]
	ds_write_b128 v255, v[0:3]
	ds_write_b128 v255, v[4:7] offset:2496
	ds_write_b128 v255, v[12:15] offset:4992
	;; [unrolled: 1-line block ×10, first 2 shown]
	s_waitcnt lgkmcnt(0)
	s_barrier
	buffer_gl0_inv
	s_and_b32 exec_lo, exec_lo, vcc_lo
	s_cbranch_execz .LBB0_31
; %bb.30:
	v_add_co_u32 v0, s0, s14, v255
	v_add_co_ci_u32_e64 v1, null, s15, 0, s0
	v_mad_u64_u32 v[52:53], null, s4, v165, 0
	v_add_co_u32 v6, vcc_lo, 0x800, v0
	v_add_co_ci_u32_e32 v7, vcc_lo, 0, v1, vcc_lo
	v_add_co_u32 v10, vcc_lo, 0x1000, v0
	v_add_co_ci_u32_e32 v11, vcc_lo, 0, v1, vcc_lo
	;; [unrolled: 2-line block ×11, first 2 shown]
	s_clause 0xb
	global_load_dwordx4 v[2:5], v255, s[14:15]
	global_load_dwordx4 v[6:9], v[6:7], off offset:64
	global_load_dwordx4 v[10:13], v[10:11], off offset:128
	;; [unrolled: 1-line block ×11, first 2 shown]
	s_clause 0x1
	buffer_load_dword v50, off, s[48:51], 0
	buffer_load_dword v51, off, s[48:51], 0 offset:4
	s_mul_i32 s0, s5, 0x840
	s_mul_hi_u32 s1, s4, 0x840
	s_mul_i32 s2, s4, 0x840
	s_add_i32 s3, s1, s0
	s_mov_b32 s0, 0x58e9ebb6
	s_mov_b32 s1, 0x3f431877
	s_waitcnt vmcnt(1)
	v_mov_b32_e32 v54, v50
	s_waitcnt vmcnt(0)
	v_mad_u64_u32 v[50:51], null, s6, v54, 0
	v_mad_u64_u32 v[54:55], null, s7, v54, v[51:52]
	v_mad_u64_u32 v[55:56], null, s5, v165, v[53:54]
	v_mov_b32_e32 v51, v54
	v_lshlrev_b64 v[50:51], 4, v[50:51]
	v_mov_b32_e32 v53, v55
	v_lshlrev_b64 v[52:53], 4, v[52:53]
	v_add_co_u32 v50, vcc_lo, s12, v50
	v_add_co_ci_u32_e32 v51, vcc_lo, s13, v51, vcc_lo
	v_add_co_u32 v102, vcc_lo, v50, v52
	v_add_co_ci_u32_e32 v103, vcc_lo, v51, v53, vcc_lo
	ds_read_b128 v[50:53], v255
	ds_read_b128 v[54:57], v255 offset:2112
	ds_read_b128 v[58:61], v255 offset:4224
	;; [unrolled: 1-line block ×11, first 2 shown]
	v_add_co_u32 v104, vcc_lo, v102, s2
	v_add_co_ci_u32_e32 v105, vcc_lo, s3, v103, vcc_lo
	ds_read_b128 v[98:101], v255 offset:25344
	v_add_co_u32 v106, vcc_lo, v104, s2
	v_add_co_ci_u32_e32 v107, vcc_lo, s3, v105, vcc_lo
	v_add_co_u32 v108, vcc_lo, v106, s2
	v_add_co_ci_u32_e32 v109, vcc_lo, s3, v107, vcc_lo
	s_waitcnt lgkmcnt(12)
	v_mul_f64 v[122:123], v[52:53], v[4:5]
	v_mul_f64 v[4:5], v[50:51], v[4:5]
	s_waitcnt lgkmcnt(11)
	v_mul_f64 v[124:125], v[56:57], v[8:9]
	v_mul_f64 v[8:9], v[54:55], v[8:9]
	;; [unrolled: 3-line block ×12, first 2 shown]
	v_fma_f64 v[50:51], v[50:51], v[2:3], v[122:123]
	v_fma_f64 v[4:5], v[2:3], v[52:53], -v[4:5]
	v_fma_f64 v[52:53], v[54:55], v[6:7], v[124:125]
	v_fma_f64 v[8:9], v[6:7], v[56:57], -v[8:9]
	;; [unrolled: 2-line block ×5, first 2 shown]
	v_add_co_u32 v110, vcc_lo, v108, s2
	v_fma_f64 v[60:61], v[70:71], v[22:23], v[132:133]
	v_fma_f64 v[24:25], v[22:23], v[72:73], -v[24:25]
	v_fma_f64 v[62:63], v[74:75], v[26:27], v[134:135]
	v_fma_f64 v[28:29], v[26:27], v[76:77], -v[28:29]
	v_add_co_ci_u32_e32 v111, vcc_lo, s3, v109, vcc_lo
	v_fma_f64 v[64:65], v[78:79], v[30:31], v[136:137]
	v_fma_f64 v[32:33], v[30:31], v[80:81], -v[32:33]
	v_fma_f64 v[66:67], v[82:83], v[34:35], v[138:139]
	v_fma_f64 v[36:37], v[34:35], v[84:85], -v[36:37]
	;; [unrolled: 2-line block ×3, first 2 shown]
	v_add_co_u32 v112, vcc_lo, v110, s2
	v_fma_f64 v[70:71], v[90:91], v[42:43], v[142:143]
	v_fma_f64 v[44:45], v[42:43], v[92:93], -v[44:45]
	v_fma_f64 v[72:73], v[94:95], v[46:47], v[144:145]
	v_fma_f64 v[48:49], v[46:47], v[96:97], -v[48:49]
	v_add_co_ci_u32_e32 v113, vcc_lo, s3, v111, vcc_lo
	v_add_co_u32 v114, vcc_lo, v112, s2
	v_mul_f64 v[2:3], v[50:51], s[0:1]
	v_add_co_ci_u32_e32 v115, vcc_lo, s3, v113, vcc_lo
	v_add_co_u32 v116, vcc_lo, v114, s2
	v_mul_f64 v[4:5], v[4:5], s[0:1]
	v_add_co_ci_u32_e32 v117, vcc_lo, s3, v115, vcc_lo
	v_mul_f64 v[6:7], v[52:53], s[0:1]
	v_mul_f64 v[8:9], v[8:9], s[0:1]
	;; [unrolled: 1-line block ×4, first 2 shown]
	v_add_co_u32 v118, vcc_lo, v116, s2
	v_mul_f64 v[14:15], v[56:57], s[0:1]
	v_mul_f64 v[16:17], v[16:17], s[0:1]
	v_mul_f64 v[18:19], v[58:59], s[0:1]
	v_mul_f64 v[20:21], v[20:21], s[0:1]
	v_add_co_ci_u32_e32 v119, vcc_lo, s3, v117, vcc_lo
	v_mul_f64 v[22:23], v[60:61], s[0:1]
	v_mul_f64 v[24:25], v[24:25], s[0:1]
	;; [unrolled: 1-line block ×6, first 2 shown]
	v_add_co_u32 v120, vcc_lo, v118, s2
	v_mul_f64 v[34:35], v[66:67], s[0:1]
	v_mul_f64 v[36:37], v[36:37], s[0:1]
	;; [unrolled: 1-line block ×4, first 2 shown]
	v_add_co_ci_u32_e32 v121, vcc_lo, s3, v119, vcc_lo
	v_mul_f64 v[42:43], v[70:71], s[0:1]
	v_mul_f64 v[44:45], v[44:45], s[0:1]
	;; [unrolled: 1-line block ×4, first 2 shown]
	v_add_co_u32 v50, vcc_lo, v120, s2
	v_add_co_ci_u32_e32 v51, vcc_lo, s3, v121, vcc_lo
	v_add_co_u32 v0, vcc_lo, 0x6000, v0
	v_add_co_ci_u32_e32 v1, vcc_lo, 0, v1, vcc_lo
	;; [unrolled: 2-line block ×3, first 2 shown]
	global_store_dwordx4 v[102:103], v[2:5], off
	global_store_dwordx4 v[104:105], v[6:9], off
	global_store_dwordx4 v[106:107], v[10:13], off
	global_store_dwordx4 v[108:109], v[14:17], off
	global_store_dwordx4 v[110:111], v[18:21], off
	global_store_dwordx4 v[112:113], v[22:25], off
	global_store_dwordx4 v[114:115], v[26:29], off
	global_store_dwordx4 v[116:117], v[30:33], off
	global_store_dwordx4 v[118:119], v[34:37], off
	global_store_dwordx4 v[120:121], v[38:41], off
	global_store_dwordx4 v[50:51], v[42:45], off
	global_store_dwordx4 v[52:53], v[46:49], off
	global_load_dwordx4 v[0:3], v[0:1], off offset:768
	s_waitcnt vmcnt(0) lgkmcnt(0)
	v_mul_f64 v[4:5], v[100:101], v[2:3]
	v_mul_f64 v[2:3], v[98:99], v[2:3]
	v_fma_f64 v[4:5], v[98:99], v[0:1], v[4:5]
	v_fma_f64 v[2:3], v[0:1], v[100:101], -v[2:3]
	v_mul_f64 v[0:1], v[4:5], s[0:1]
	v_mul_f64 v[2:3], v[2:3], s[0:1]
	v_add_co_u32 v4, vcc_lo, v52, s2
	v_add_co_ci_u32_e32 v5, vcc_lo, s3, v53, vcc_lo
	global_store_dwordx4 v[4:5], v[0:3], off
.LBB0_31:
	s_endpgm
	.section	.rodata,"a",@progbits
	.p2align	6, 0x0
	.amdhsa_kernel bluestein_single_back_len1716_dim1_dp_op_CI_CI
		.amdhsa_group_segment_fixed_size 27456
		.amdhsa_private_segment_fixed_size 128
		.amdhsa_kernarg_size 104
		.amdhsa_user_sgpr_count 6
		.amdhsa_user_sgpr_private_segment_buffer 1
		.amdhsa_user_sgpr_dispatch_ptr 0
		.amdhsa_user_sgpr_queue_ptr 0
		.amdhsa_user_sgpr_kernarg_segment_ptr 1
		.amdhsa_user_sgpr_dispatch_id 0
		.amdhsa_user_sgpr_flat_scratch_init 0
		.amdhsa_user_sgpr_private_segment_size 0
		.amdhsa_wavefront_size32 1
		.amdhsa_uses_dynamic_stack 0
		.amdhsa_system_sgpr_private_segment_wavefront_offset 1
		.amdhsa_system_sgpr_workgroup_id_x 1
		.amdhsa_system_sgpr_workgroup_id_y 0
		.amdhsa_system_sgpr_workgroup_id_z 0
		.amdhsa_system_sgpr_workgroup_info 0
		.amdhsa_system_vgpr_workitem_id 0
		.amdhsa_next_free_vgpr 256
		.amdhsa_next_free_sgpr 52
		.amdhsa_reserve_vcc 1
		.amdhsa_reserve_flat_scratch 0
		.amdhsa_float_round_mode_32 0
		.amdhsa_float_round_mode_16_64 0
		.amdhsa_float_denorm_mode_32 3
		.amdhsa_float_denorm_mode_16_64 3
		.amdhsa_dx10_clamp 1
		.amdhsa_ieee_mode 1
		.amdhsa_fp16_overflow 0
		.amdhsa_workgroup_processor_mode 1
		.amdhsa_memory_ordered 1
		.amdhsa_forward_progress 0
		.amdhsa_shared_vgpr_count 0
		.amdhsa_exception_fp_ieee_invalid_op 0
		.amdhsa_exception_fp_denorm_src 0
		.amdhsa_exception_fp_ieee_div_zero 0
		.amdhsa_exception_fp_ieee_overflow 0
		.amdhsa_exception_fp_ieee_underflow 0
		.amdhsa_exception_fp_ieee_inexact 0
		.amdhsa_exception_int_div_zero 0
	.end_amdhsa_kernel
	.text
.Lfunc_end0:
	.size	bluestein_single_back_len1716_dim1_dp_op_CI_CI, .Lfunc_end0-bluestein_single_back_len1716_dim1_dp_op_CI_CI
                                        ; -- End function
	.section	.AMDGPU.csdata,"",@progbits
; Kernel info:
; codeLenInByte = 24120
; NumSgprs: 54
; NumVgprs: 256
; ScratchSize: 128
; MemoryBound: 0
; FloatMode: 240
; IeeeMode: 1
; LDSByteSize: 27456 bytes/workgroup (compile time only)
; SGPRBlocks: 6
; VGPRBlocks: 31
; NumSGPRsForWavesPerEU: 54
; NumVGPRsForWavesPerEU: 256
; Occupancy: 4
; WaveLimiterHint : 1
; COMPUTE_PGM_RSRC2:SCRATCH_EN: 1
; COMPUTE_PGM_RSRC2:USER_SGPR: 6
; COMPUTE_PGM_RSRC2:TRAP_HANDLER: 0
; COMPUTE_PGM_RSRC2:TGID_X_EN: 1
; COMPUTE_PGM_RSRC2:TGID_Y_EN: 0
; COMPUTE_PGM_RSRC2:TGID_Z_EN: 0
; COMPUTE_PGM_RSRC2:TIDIG_COMP_CNT: 0
	.text
	.p2alignl 6, 3214868480
	.fill 48, 4, 3214868480
	.type	__hip_cuid_8ee0d2d02725627d,@object ; @__hip_cuid_8ee0d2d02725627d
	.section	.bss,"aw",@nobits
	.globl	__hip_cuid_8ee0d2d02725627d
__hip_cuid_8ee0d2d02725627d:
	.byte	0                               ; 0x0
	.size	__hip_cuid_8ee0d2d02725627d, 1

	.ident	"AMD clang version 19.0.0git (https://github.com/RadeonOpenCompute/llvm-project roc-6.4.0 25133 c7fe45cf4b819c5991fe208aaa96edf142730f1d)"
	.section	".note.GNU-stack","",@progbits
	.addrsig
	.addrsig_sym __hip_cuid_8ee0d2d02725627d
	.amdgpu_metadata
---
amdhsa.kernels:
  - .args:
      - .actual_access:  read_only
        .address_space:  global
        .offset:         0
        .size:           8
        .value_kind:     global_buffer
      - .actual_access:  read_only
        .address_space:  global
        .offset:         8
        .size:           8
        .value_kind:     global_buffer
      - .actual_access:  read_only
        .address_space:  global
        .offset:         16
        .size:           8
        .value_kind:     global_buffer
      - .actual_access:  read_only
        .address_space:  global
        .offset:         24
        .size:           8
        .value_kind:     global_buffer
      - .actual_access:  read_only
        .address_space:  global
        .offset:         32
        .size:           8
        .value_kind:     global_buffer
      - .offset:         40
        .size:           8
        .value_kind:     by_value
      - .address_space:  global
        .offset:         48
        .size:           8
        .value_kind:     global_buffer
      - .address_space:  global
        .offset:         56
        .size:           8
        .value_kind:     global_buffer
      - .address_space:  global
        .offset:         64
        .size:           8
        .value_kind:     global_buffer
      - .address_space:  global
        .offset:         72
        .size:           8
        .value_kind:     global_buffer
      - .offset:         80
        .size:           4
        .value_kind:     by_value
      - .address_space:  global
        .offset:         88
        .size:           8
        .value_kind:     global_buffer
      - .address_space:  global
        .offset:         96
        .size:           8
        .value_kind:     global_buffer
    .group_segment_fixed_size: 27456
    .kernarg_segment_align: 8
    .kernarg_segment_size: 104
    .language:       OpenCL C
    .language_version:
      - 2
      - 0
    .max_flat_workgroup_size: 156
    .name:           bluestein_single_back_len1716_dim1_dp_op_CI_CI
    .private_segment_fixed_size: 128
    .sgpr_count:     54
    .sgpr_spill_count: 0
    .symbol:         bluestein_single_back_len1716_dim1_dp_op_CI_CI.kd
    .uniform_work_group_size: 1
    .uses_dynamic_stack: false
    .vgpr_count:     256
    .vgpr_spill_count: 31
    .wavefront_size: 32
    .workgroup_processor_mode: 1
amdhsa.target:   amdgcn-amd-amdhsa--gfx1030
amdhsa.version:
  - 1
  - 2
...

	.end_amdgpu_metadata
